;; amdgpu-corpus repo=zjin-lcf/HeCBench kind=compiled arch=gfx90a opt=O3
	.text
	.amdgcn_target "amdgcn-amd-amdhsa--gfx90a"
	.amdhsa_code_object_version 6
	.protected	_Z5task1PdS_ii          ; -- Begin function _Z5task1PdS_ii
	.globl	_Z5task1PdS_ii
	.p2align	8
	.type	_Z5task1PdS_ii,@function
_Z5task1PdS_ii:                         ; @_Z5task1PdS_ii
; %bb.0:
	s_mov_b64 s[98:99], s[2:3]
	s_mov_b64 s[96:97], s[0:1]
	s_add_u32 s96, s96, s8
	s_load_dwordx4 s[0:3], s[4:5], 0x8
	s_load_dword s8, s[4:5], 0x18
	s_load_dword s9, s[4:5], 0x24
	s_addc_u32 s97, s97, 0
	s_add_u32 s10, s4, 24
	s_addc_u32 s11, s5, 0
	s_waitcnt lgkmcnt(0)
	s_mul_i32 s2, s8, s2
	s_and_b32 s12, s9, 0xffff
	s_load_dwordx2 s[8:9], s[0:1], 0x10
	s_add_i32 s2, s2, s6
	s_mul_i32 s2, s2, s12
	v_and_b32_e32 v1, 0x3ff, v0
	v_add_u32_e32 v78, s2, v1
	v_cvt_f64_u32_e32 v[2:3], v78
	s_waitcnt lgkmcnt(0)
	v_cmp_nle_f64_e32 vcc, s[8:9], v[2:3]
	s_and_saveexec_b64 s[12:13], vcc
	s_cbranch_execz .LBB0_148
; %bb.1:
	s_load_dword s2, s[10:11], 0x4
	s_load_dword s6, s[10:11], 0xc
	v_bfe_u32 v0, v0, 10, 10
	s_waitcnt lgkmcnt(0)
	s_mul_i32 s2, s2, s3
	s_lshr_b32 s3, s6, 16
	s_add_i32 s2, s2, s7
	s_mul_i32 s2, s2, s3
	v_add_u32_e32 v79, s2, v0
	v_cvt_f64_u32_e32 v[0:1], v79
	v_cmp_nle_f64_e32 vcc, s[8:9], v[0:1]
	s_and_b64 exec, exec, vcc
	s_cbranch_execz .LBB0_148
; %bb.2:
	s_load_dwordx4 s[12:15], s[0:1], 0x0
	v_mov_b32_e32 v4, 0xa1fae712
	v_mov_b32_e32 v5, 0x3f91df46
	s_mov_b32 s0, 0
	s_mov_b32 s1, 0x41d00000
	s_waitcnt lgkmcnt(0)
	v_mul_f64 v[8:9], s[14:15], v[4:5]
	v_cmp_nlt_f64_e64 s[10:11], |v[8:9]|, s[0:1]
	s_and_b64 vcc, exec, s[10:11]
	v_trig_preop_f64 v[12:13], |v[8:9]|, 0
	v_trig_preop_f64 v[10:11], |v[8:9]|, 1
	;; [unrolled: 1-line block ×3, first 2 shown]
	s_cbranch_vccz .LBB0_4
; %bb.3:
	s_mov_b32 s0, 0
	s_mov_b32 s1, 0x7b000000
	s_movk_i32 s2, 0xff80
	v_and_b32_e32 v14, 0x7fffffff, v9
	v_ldexp_f64 v[4:5], |v[8:9]|, s2
	v_cmp_ge_f64_e64 vcc, |v[8:9]|, s[0:1]
	v_cndmask_b32_e32 v5, v14, v5, vcc
	v_cndmask_b32_e32 v4, v8, v4, vcc
	v_mul_f64 v[16:17], v[12:13], v[4:5]
	v_mul_f64 v[14:15], v[10:11], v[4:5]
	v_fma_f64 v[18:19], v[12:13], v[4:5], -v[16:17]
	v_add_f64 v[20:21], v[14:15], v[18:19]
	v_add_f64 v[22:23], v[16:17], v[20:21]
	s_mov_b32 s0, 0
	v_ldexp_f64 v[24:25], v[22:23], -2
	s_mov_b32 s1, 0x7ff00000
	v_fract_f64_e32 v[26:27], v[24:25]
	v_cmp_neq_f64_e64 vcc, |v[24:25]|, s[0:1]
	v_cndmask_b32_e32 v25, 0, v27, vcc
	v_cndmask_b32_e32 v24, 0, v26, vcc
	v_add_f64 v[26:27], v[20:21], -v[14:15]
	v_add_f64 v[18:19], v[18:19], -v[26:27]
	;; [unrolled: 1-line block ×4, first 2 shown]
	v_add_f64 v[18:19], v[18:19], v[26:27]
	v_fma_f64 v[14:15], v[10:11], v[4:5], -v[14:15]
	v_mul_f64 v[26:27], v[6:7], v[4:5]
	v_add_f64 v[28:29], v[26:27], v[14:15]
	v_add_f64 v[30:31], v[28:29], v[18:19]
	v_add_f64 v[16:17], v[22:23], -v[16:17]
	v_add_f64 v[22:23], v[30:31], -v[28:29]
	;; [unrolled: 1-line block ×5, first 2 shown]
	v_add_f64 v[18:19], v[18:19], v[22:23]
	v_add_f64 v[22:23], v[28:29], -v[26:27]
	v_add_f64 v[14:15], v[14:15], -v[22:23]
	;; [unrolled: 1-line block ×5, first 2 shown]
	v_add_f64 v[20:21], v[16:17], v[30:31]
	v_add_f64 v[14:15], v[14:15], v[22:23]
	v_add_f64 v[16:17], v[20:21], -v[16:17]
	v_add_f64 v[14:15], v[14:15], v[18:19]
	v_fma_f64 v[4:5], v[6:7], v[4:5], -v[26:27]
	v_add_f64 v[16:17], v[30:31], -v[16:17]
	v_add_f64 v[4:5], v[4:5], v[14:15]
	v_ldexp_f64 v[14:15], v[24:25], 2
	v_add_f64 v[4:5], v[16:17], v[4:5]
	v_add_f64 v[16:17], v[20:21], v[14:15]
	v_cmp_gt_f64_e32 vcc, 0, v[16:17]
	s_and_b64 s[0:1], vcc, exec
	s_mov_b32 s6, 0
	s_cselect_b32 s7, 0x40100000, 0
	v_add_f64 v[14:15], v[14:15], s[6:7]
	v_add_f64 v[16:17], v[20:21], v[14:15]
	v_cvt_i32_f64_e32 v18, v[16:17]
	v_cvt_f64_i32_e32 v[16:17], v18
	v_add_f64 v[14:15], v[14:15], -v[16:17]
	v_add_f64 v[16:17], v[20:21], v[14:15]
	v_cmp_le_f64_e32 vcc, 0.5, v[16:17]
	v_add_f64 v[14:15], v[16:17], -v[14:15]
	s_and_b64 s[0:1], vcc, exec
	v_add_f64 v[14:15], v[20:21], -v[14:15]
	s_cselect_b32 s7, 0x3ff00000, 0
	v_add_f64 v[4:5], v[4:5], v[14:15]
	v_addc_co_u32_e64 v32, s[0:1], 0, v18, vcc
	v_add_f64 v[14:15], v[16:17], -s[6:7]
	v_add_f64 v[16:17], v[14:15], v[4:5]
	s_mov_b32 s0, 0x54442d18
	v_add_f64 v[14:15], v[16:17], -v[14:15]
	s_mov_b32 s1, 0x3ff921fb
	v_add_f64 v[4:5], v[4:5], -v[14:15]
	v_mul_f64 v[14:15], v[16:17], s[0:1]
	s_mov_b32 s6, 0x33145c07
	v_fma_f64 v[18:19], v[16:17], s[0:1], -v[14:15]
	s_mov_b32 s7, 0x3c91a626
	v_fmac_f64_e32 v[18:19], s[6:7], v[16:17]
	v_fmac_f64_e32 v[18:19], s[0:1], v[4:5]
	v_add_f64 v[4:5], v[14:15], v[18:19]
	v_add_f64 v[14:15], v[4:5], -v[14:15]
	v_add_f64 v[14:15], v[18:19], -v[14:15]
	s_cbranch_execz .LBB0_5
	s_branch .LBB0_6
.LBB0_4:
                                        ; implicit-def: $vgpr32
                                        ; implicit-def: $vgpr4_vgpr5
                                        ; implicit-def: $vgpr14_vgpr15
.LBB0_5:
	s_mov_b32 s0, 0x6dc9c883
	s_mov_b32 s1, 0x3fe45f30
	v_mul_f64 v[4:5], |v[8:9]|, s[0:1]
	s_mov_b32 s0, 0x54442d18
	v_rndne_f64_e32 v[16:17], v[4:5]
	s_mov_b32 s1, 0xbff921fb
	v_fma_f64 v[4:5], v[16:17], s[0:1], |v[8:9]|
	s_mov_b32 s1, 0xbc91a626
	s_mov_b32 s0, 0x33145c00
	v_mul_f64 v[18:19], v[16:17], s[0:1]
	v_add_f64 v[22:23], v[4:5], v[18:19]
	v_fma_f64 v[14:15], s[0:1], v[16:17], v[4:5]
	s_mov_b32 s1, 0x3c91a626
	v_add_f64 v[4:5], v[4:5], -v[22:23]
	v_fma_f64 v[20:21], s[0:1], v[16:17], v[18:19]
	v_add_f64 v[4:5], v[4:5], v[18:19]
	v_add_f64 v[18:19], v[22:23], -v[14:15]
	v_add_f64 v[4:5], v[18:19], v[4:5]
	s_mov_b32 s0, 0x252049c0
	v_add_f64 v[18:19], v[4:5], -v[20:21]
	s_mov_b32 s1, 0xb97b839a
	v_fmac_f64_e32 v[18:19], s[0:1], v[16:17]
	v_add_f64 v[4:5], v[14:15], v[18:19]
	v_add_f64 v[14:15], v[4:5], -v[14:15]
	v_add_f64 v[14:15], v[18:19], -v[14:15]
	v_cvt_i32_f64_e32 v32, v[16:17]
.LBB0_6:
	s_and_b64 vcc, exec, s[10:11]
	s_cbranch_vccz .LBB0_8
; %bb.7:
	s_mov_b32 s0, 0
	s_mov_b32 s1, 0x7b000000
	s_movk_i32 s2, 0xff80
	v_and_b32_e32 v18, 0x7fffffff, v9
	v_ldexp_f64 v[16:17], |v[8:9]|, s2
	v_cmp_ge_f64_e64 vcc, |v[8:9]|, s[0:1]
	v_cndmask_b32_e32 v17, v18, v17, vcc
	v_cndmask_b32_e32 v16, v8, v16, vcc
	v_mul_f64 v[20:21], v[12:13], v[16:17]
	v_mul_f64 v[18:19], v[10:11], v[16:17]
	v_fma_f64 v[22:23], v[12:13], v[16:17], -v[20:21]
	v_add_f64 v[24:25], v[18:19], v[22:23]
	v_add_f64 v[26:27], v[20:21], v[24:25]
	s_mov_b32 s0, 0
	v_ldexp_f64 v[28:29], v[26:27], -2
	s_mov_b32 s1, 0x7ff00000
	v_fract_f64_e32 v[30:31], v[28:29]
	v_cmp_neq_f64_e64 vcc, |v[28:29]|, s[0:1]
	v_cndmask_b32_e32 v29, 0, v31, vcc
	v_cndmask_b32_e32 v28, 0, v30, vcc
	v_add_f64 v[30:31], v[24:25], -v[18:19]
	v_add_f64 v[22:23], v[22:23], -v[30:31]
	;; [unrolled: 1-line block ×4, first 2 shown]
	v_add_f64 v[22:23], v[22:23], v[30:31]
	v_fma_f64 v[18:19], v[10:11], v[16:17], -v[18:19]
	v_mul_f64 v[30:31], v[6:7], v[16:17]
	v_add_f64 v[34:35], v[30:31], v[18:19]
	v_add_f64 v[36:37], v[34:35], v[22:23]
	v_add_f64 v[20:21], v[26:27], -v[20:21]
	v_add_f64 v[26:27], v[36:37], -v[34:35]
	;; [unrolled: 1-line block ×5, first 2 shown]
	v_add_f64 v[22:23], v[22:23], v[26:27]
	v_add_f64 v[26:27], v[34:35], -v[30:31]
	v_add_f64 v[18:19], v[18:19], -v[26:27]
	;; [unrolled: 1-line block ×5, first 2 shown]
	v_add_f64 v[24:25], v[20:21], v[36:37]
	v_add_f64 v[18:19], v[18:19], v[26:27]
	v_add_f64 v[20:21], v[24:25], -v[20:21]
	v_add_f64 v[18:19], v[18:19], v[22:23]
	v_fma_f64 v[16:17], v[6:7], v[16:17], -v[30:31]
	v_add_f64 v[20:21], v[36:37], -v[20:21]
	v_add_f64 v[16:17], v[16:17], v[18:19]
	v_ldexp_f64 v[18:19], v[28:29], 2
	v_add_f64 v[16:17], v[20:21], v[16:17]
	v_add_f64 v[20:21], v[24:25], v[18:19]
	v_cmp_gt_f64_e32 vcc, 0, v[20:21]
	s_and_b64 s[0:1], vcc, exec
	s_mov_b32 s6, 0
	s_cselect_b32 s7, 0x40100000, 0
	v_add_f64 v[18:19], v[18:19], s[6:7]
	v_add_f64 v[20:21], v[24:25], v[18:19]
	v_cvt_i32_f64_e32 v22, v[20:21]
	v_cvt_f64_i32_e32 v[20:21], v22
	v_add_f64 v[18:19], v[18:19], -v[20:21]
	v_add_f64 v[20:21], v[24:25], v[18:19]
	v_cmp_le_f64_e32 vcc, 0.5, v[20:21]
	v_add_f64 v[18:19], v[20:21], -v[18:19]
	s_and_b64 s[0:1], vcc, exec
	v_add_f64 v[18:19], v[24:25], -v[18:19]
	v_addc_co_u32_e64 v33, s[0:1], 0, v22, vcc
	s_cselect_b32 s7, 0x3ff00000, 0
	v_add_f64 v[16:17], v[16:17], v[18:19]
	v_add_f64 v[18:19], v[20:21], -s[6:7]
	s_mov_b32 s0, 0x54442d18
	v_add_f64 v[20:21], v[18:19], v[16:17]
	s_mov_b32 s1, 0x3ff921fb
	v_mul_f64 v[22:23], v[20:21], s[0:1]
	s_mov_b32 s6, 0x33145c07
	v_add_f64 v[18:19], v[20:21], -v[18:19]
	v_fma_f64 v[24:25], v[20:21], s[0:1], -v[22:23]
	s_mov_b32 s7, 0x3c91a626
	v_add_f64 v[16:17], v[16:17], -v[18:19]
	v_fmac_f64_e32 v[24:25], s[6:7], v[20:21]
	v_fmac_f64_e32 v[24:25], s[0:1], v[16:17]
	v_add_f64 v[18:19], v[22:23], v[24:25]
	v_add_f64 v[16:17], v[18:19], -v[22:23]
	v_add_f64 v[20:21], v[24:25], -v[16:17]
	s_cbranch_execz .LBB0_9
	s_branch .LBB0_10
.LBB0_8:
                                        ; implicit-def: $vgpr33
                                        ; implicit-def: $vgpr18_vgpr19
                                        ; implicit-def: $vgpr20_vgpr21
.LBB0_9:
	s_mov_b32 s0, 0x6dc9c883
	s_mov_b32 s1, 0x3fe45f30
	v_mul_f64 v[16:17], |v[8:9]|, s[0:1]
	s_mov_b32 s0, 0x54442d18
	v_rndne_f64_e32 v[16:17], v[16:17]
	s_mov_b32 s1, 0xbff921fb
	v_fma_f64 v[18:19], v[16:17], s[0:1], |v[8:9]|
	s_mov_b32 s1, 0xbc91a626
	s_mov_b32 s0, 0x33145c00
	v_mul_f64 v[22:23], v[16:17], s[0:1]
	v_add_f64 v[26:27], v[18:19], v[22:23]
	v_fma_f64 v[20:21], s[0:1], v[16:17], v[18:19]
	s_mov_b32 s1, 0x3c91a626
	v_add_f64 v[18:19], v[18:19], -v[26:27]
	v_fma_f64 v[24:25], s[0:1], v[16:17], v[22:23]
	v_add_f64 v[18:19], v[18:19], v[22:23]
	v_add_f64 v[22:23], v[26:27], -v[20:21]
	v_add_f64 v[18:19], v[22:23], v[18:19]
	s_mov_b32 s0, 0x252049c0
	v_add_f64 v[22:23], v[18:19], -v[24:25]
	s_mov_b32 s1, 0xb97b839a
	v_fmac_f64_e32 v[22:23], s[0:1], v[16:17]
	v_add_f64 v[18:19], v[20:21], v[22:23]
	v_add_f64 v[20:21], v[18:19], -v[20:21]
	v_add_f64 v[20:21], v[22:23], -v[20:21]
	v_cvt_i32_f64_e32 v33, v[16:17]
.LBB0_10:
	s_and_b64 vcc, exec, s[10:11]
	s_cbranch_vccz .LBB0_12
; %bb.11:
	s_mov_b32 s0, 0
	s_mov_b32 s1, 0x7b000000
	s_movk_i32 s2, 0xff80
	v_and_b32_e32 v22, 0x7fffffff, v9
	v_ldexp_f64 v[16:17], |v[8:9]|, s2
	v_cmp_ge_f64_e64 vcc, |v[8:9]|, s[0:1]
	v_cndmask_b32_e32 v17, v22, v17, vcc
	v_cndmask_b32_e32 v16, v8, v16, vcc
	v_mul_f64 v[24:25], v[12:13], v[16:17]
	v_mul_f64 v[22:23], v[10:11], v[16:17]
	v_fma_f64 v[26:27], v[12:13], v[16:17], -v[24:25]
	v_add_f64 v[28:29], v[22:23], v[26:27]
	v_add_f64 v[30:31], v[24:25], v[28:29]
	s_mov_b32 s0, 0
	v_ldexp_f64 v[34:35], v[30:31], -2
	s_mov_b32 s1, 0x7ff00000
	v_fract_f64_e32 v[36:37], v[34:35]
	v_cmp_neq_f64_e64 vcc, |v[34:35]|, s[0:1]
	v_cndmask_b32_e32 v35, 0, v37, vcc
	v_cndmask_b32_e32 v34, 0, v36, vcc
	v_add_f64 v[36:37], v[28:29], -v[22:23]
	v_add_f64 v[26:27], v[26:27], -v[36:37]
	;; [unrolled: 1-line block ×4, first 2 shown]
	v_add_f64 v[26:27], v[26:27], v[36:37]
	v_fma_f64 v[22:23], v[10:11], v[16:17], -v[22:23]
	v_mul_f64 v[36:37], v[6:7], v[16:17]
	v_add_f64 v[38:39], v[36:37], v[22:23]
	v_add_f64 v[40:41], v[38:39], v[26:27]
	v_add_f64 v[24:25], v[30:31], -v[24:25]
	v_add_f64 v[30:31], v[40:41], -v[38:39]
	;; [unrolled: 1-line block ×5, first 2 shown]
	v_add_f64 v[26:27], v[26:27], v[30:31]
	v_add_f64 v[30:31], v[38:39], -v[36:37]
	v_add_f64 v[22:23], v[22:23], -v[30:31]
	;; [unrolled: 1-line block ×5, first 2 shown]
	v_add_f64 v[28:29], v[24:25], v[40:41]
	v_add_f64 v[22:23], v[22:23], v[30:31]
	v_add_f64 v[24:25], v[28:29], -v[24:25]
	v_add_f64 v[22:23], v[22:23], v[26:27]
	v_fma_f64 v[16:17], v[6:7], v[16:17], -v[36:37]
	v_add_f64 v[24:25], v[40:41], -v[24:25]
	v_add_f64 v[16:17], v[16:17], v[22:23]
	v_ldexp_f64 v[22:23], v[34:35], 2
	v_add_f64 v[16:17], v[24:25], v[16:17]
	v_add_f64 v[24:25], v[28:29], v[22:23]
	v_cmp_gt_f64_e32 vcc, 0, v[24:25]
	s_and_b64 s[0:1], vcc, exec
	s_mov_b32 s6, 0
	s_cselect_b32 s7, 0x40100000, 0
	v_add_f64 v[22:23], v[22:23], s[6:7]
	v_add_f64 v[24:25], v[28:29], v[22:23]
	v_cvt_i32_f64_e32 v26, v[24:25]
	v_cvt_f64_i32_e32 v[24:25], v26
	v_add_f64 v[22:23], v[22:23], -v[24:25]
	v_add_f64 v[24:25], v[28:29], v[22:23]
	v_cmp_le_f64_e32 vcc, 0.5, v[24:25]
	v_add_f64 v[22:23], v[24:25], -v[22:23]
	s_and_b64 s[0:1], vcc, exec
	v_add_f64 v[22:23], v[28:29], -v[22:23]
	s_cselect_b32 s7, 0x3ff00000, 0
	v_add_f64 v[16:17], v[16:17], v[22:23]
	v_addc_co_u32_e64 v35, s[0:1], 0, v26, vcc
	v_add_f64 v[22:23], v[24:25], -s[6:7]
	v_add_f64 v[24:25], v[22:23], v[16:17]
	s_mov_b32 s0, 0x54442d18
	v_add_f64 v[22:23], v[24:25], -v[22:23]
	s_mov_b32 s1, 0x3ff921fb
	v_add_f64 v[16:17], v[16:17], -v[22:23]
	v_mul_f64 v[22:23], v[24:25], s[0:1]
	s_mov_b32 s6, 0x33145c07
	v_fma_f64 v[26:27], v[24:25], s[0:1], -v[22:23]
	s_mov_b32 s7, 0x3c91a626
	v_fmac_f64_e32 v[26:27], s[6:7], v[24:25]
	v_fmac_f64_e32 v[26:27], s[0:1], v[16:17]
	v_add_f64 v[16:17], v[22:23], v[26:27]
	v_add_f64 v[22:23], v[16:17], -v[22:23]
	v_add_f64 v[26:27], v[26:27], -v[22:23]
	s_cbranch_execz .LBB0_13
	s_branch .LBB0_14
.LBB0_12:
                                        ; implicit-def: $vgpr35
                                        ; implicit-def: $vgpr16_vgpr17
                                        ; implicit-def: $vgpr26_vgpr27
.LBB0_13:
	s_mov_b32 s0, 0x6dc9c883
	s_mov_b32 s1, 0x3fe45f30
	v_mul_f64 v[16:17], |v[8:9]|, s[0:1]
	s_mov_b32 s0, 0x54442d18
	v_rndne_f64_e32 v[22:23], v[16:17]
	s_mov_b32 s1, 0xbff921fb
	v_fma_f64 v[16:17], v[22:23], s[0:1], |v[8:9]|
	s_mov_b32 s1, 0xbc91a626
	s_mov_b32 s0, 0x33145c00
	v_mul_f64 v[26:27], v[22:23], s[0:1]
	v_add_f64 v[30:31], v[16:17], v[26:27]
	v_fma_f64 v[24:25], s[0:1], v[22:23], v[16:17]
	s_mov_b32 s1, 0x3c91a626
	v_add_f64 v[16:17], v[16:17], -v[30:31]
	v_fma_f64 v[28:29], s[0:1], v[22:23], v[26:27]
	v_add_f64 v[16:17], v[16:17], v[26:27]
	v_add_f64 v[26:27], v[30:31], -v[24:25]
	v_add_f64 v[16:17], v[26:27], v[16:17]
	s_mov_b32 s0, 0x252049c0
	v_add_f64 v[26:27], v[16:17], -v[28:29]
	s_mov_b32 s1, 0xb97b839a
	v_fmac_f64_e32 v[26:27], s[0:1], v[22:23]
	v_add_f64 v[16:17], v[24:25], v[26:27]
	v_add_f64 v[24:25], v[16:17], -v[24:25]
	v_add_f64 v[26:27], v[26:27], -v[24:25]
	v_cvt_i32_f64_e32 v35, v[22:23]
.LBB0_14:
	s_and_b64 vcc, exec, s[10:11]
	s_cbranch_vccz .LBB0_16
; %bb.15:
	s_mov_b32 s0, 0
	s_mov_b32 s1, 0x7b000000
	s_movk_i32 s2, 0xff80
	v_and_b32_e32 v24, 0x7fffffff, v9
	v_ldexp_f64 v[22:23], |v[8:9]|, s2
	v_cmp_ge_f64_e64 vcc, |v[8:9]|, s[0:1]
	v_cndmask_b32_e32 v23, v24, v23, vcc
	v_cndmask_b32_e32 v22, v8, v22, vcc
	v_mul_f64 v[28:29], v[12:13], v[22:23]
	v_mul_f64 v[24:25], v[10:11], v[22:23]
	v_fma_f64 v[30:31], v[12:13], v[22:23], -v[28:29]
	v_add_f64 v[36:37], v[24:25], v[30:31]
	v_add_f64 v[38:39], v[28:29], v[36:37]
	s_mov_b32 s0, 0
	v_ldexp_f64 v[40:41], v[38:39], -2
	s_mov_b32 s1, 0x7ff00000
	v_fract_f64_e32 v[42:43], v[40:41]
	v_cmp_neq_f64_e64 vcc, |v[40:41]|, s[0:1]
	v_cndmask_b32_e32 v41, 0, v43, vcc
	v_cndmask_b32_e32 v40, 0, v42, vcc
	v_add_f64 v[42:43], v[36:37], -v[24:25]
	v_add_f64 v[30:31], v[30:31], -v[42:43]
	;; [unrolled: 1-line block ×4, first 2 shown]
	v_add_f64 v[30:31], v[30:31], v[42:43]
	v_fma_f64 v[24:25], v[10:11], v[22:23], -v[24:25]
	v_mul_f64 v[42:43], v[6:7], v[22:23]
	v_add_f64 v[44:45], v[42:43], v[24:25]
	v_add_f64 v[46:47], v[44:45], v[30:31]
	v_add_f64 v[28:29], v[38:39], -v[28:29]
	v_add_f64 v[38:39], v[46:47], -v[44:45]
	;; [unrolled: 1-line block ×5, first 2 shown]
	v_add_f64 v[30:31], v[30:31], v[38:39]
	v_add_f64 v[38:39], v[44:45], -v[42:43]
	v_add_f64 v[24:25], v[24:25], -v[38:39]
	;; [unrolled: 1-line block ×5, first 2 shown]
	v_add_f64 v[36:37], v[28:29], v[46:47]
	v_add_f64 v[24:25], v[24:25], v[38:39]
	v_add_f64 v[28:29], v[36:37], -v[28:29]
	v_add_f64 v[24:25], v[24:25], v[30:31]
	v_fma_f64 v[22:23], v[6:7], v[22:23], -v[42:43]
	v_add_f64 v[28:29], v[46:47], -v[28:29]
	v_add_f64 v[22:23], v[22:23], v[24:25]
	v_ldexp_f64 v[24:25], v[40:41], 2
	v_add_f64 v[22:23], v[28:29], v[22:23]
	v_add_f64 v[28:29], v[36:37], v[24:25]
	v_cmp_gt_f64_e32 vcc, 0, v[28:29]
	s_and_b64 s[0:1], vcc, exec
	s_mov_b32 s6, 0
	s_cselect_b32 s7, 0x40100000, 0
	v_add_f64 v[24:25], v[24:25], s[6:7]
	v_add_f64 v[28:29], v[36:37], v[24:25]
	v_cvt_i32_f64_e32 v30, v[28:29]
	v_cvt_f64_i32_e32 v[28:29], v30
	v_add_f64 v[24:25], v[24:25], -v[28:29]
	v_add_f64 v[28:29], v[36:37], v[24:25]
	v_cmp_le_f64_e32 vcc, 0.5, v[28:29]
	v_add_f64 v[24:25], v[28:29], -v[24:25]
	s_and_b64 s[0:1], vcc, exec
	v_add_f64 v[24:25], v[36:37], -v[24:25]
	s_cselect_b32 s7, 0x3ff00000, 0
	v_add_f64 v[22:23], v[22:23], v[24:25]
	v_addc_co_u32_e64 v34, s[0:1], 0, v30, vcc
	v_add_f64 v[24:25], v[28:29], -s[6:7]
	v_add_f64 v[28:29], v[24:25], v[22:23]
	s_mov_b32 s0, 0x54442d18
	v_add_f64 v[24:25], v[28:29], -v[24:25]
	s_mov_b32 s1, 0x3ff921fb
	v_add_f64 v[22:23], v[22:23], -v[24:25]
	v_mul_f64 v[24:25], v[28:29], s[0:1]
	s_mov_b32 s6, 0x33145c07
	v_fma_f64 v[30:31], v[28:29], s[0:1], -v[24:25]
	s_mov_b32 s7, 0x3c91a626
	v_fmac_f64_e32 v[30:31], s[6:7], v[28:29]
	v_fmac_f64_e32 v[30:31], s[0:1], v[22:23]
	v_add_f64 v[22:23], v[24:25], v[30:31]
	v_add_f64 v[24:25], v[22:23], -v[24:25]
	v_add_f64 v[24:25], v[30:31], -v[24:25]
	s_cbranch_execz .LBB0_17
	s_branch .LBB0_18
.LBB0_16:
                                        ; implicit-def: $vgpr34
                                        ; implicit-def: $vgpr22_vgpr23
                                        ; implicit-def: $vgpr24_vgpr25
.LBB0_17:
	s_mov_b32 s0, 0x6dc9c883
	s_mov_b32 s1, 0x3fe45f30
	v_mul_f64 v[22:23], |v[8:9]|, s[0:1]
	s_mov_b32 s0, 0x54442d18
	v_rndne_f64_e32 v[28:29], v[22:23]
	s_mov_b32 s1, 0xbff921fb
	v_fma_f64 v[22:23], v[28:29], s[0:1], |v[8:9]|
	s_mov_b32 s1, 0xbc91a626
	s_mov_b32 s0, 0x33145c00
	v_mul_f64 v[30:31], v[28:29], s[0:1]
	v_add_f64 v[38:39], v[22:23], v[30:31]
	v_fma_f64 v[24:25], s[0:1], v[28:29], v[22:23]
	s_mov_b32 s1, 0x3c91a626
	v_add_f64 v[22:23], v[22:23], -v[38:39]
	v_fma_f64 v[36:37], s[0:1], v[28:29], v[30:31]
	v_add_f64 v[22:23], v[22:23], v[30:31]
	v_add_f64 v[30:31], v[38:39], -v[24:25]
	v_add_f64 v[22:23], v[30:31], v[22:23]
	s_mov_b32 s0, 0x252049c0
	v_add_f64 v[30:31], v[22:23], -v[36:37]
	s_mov_b32 s1, 0xb97b839a
	v_fmac_f64_e32 v[30:31], s[0:1], v[28:29]
	v_add_f64 v[22:23], v[24:25], v[30:31]
	v_add_f64 v[24:25], v[22:23], -v[24:25]
	v_add_f64 v[24:25], v[30:31], -v[24:25]
	v_cvt_i32_f64_e32 v34, v[28:29]
.LBB0_18:
	v_mul_f64 v[36:37], v[16:17], v[16:17]
	v_mul_f64 v[28:29], v[36:37], -0.5
	v_add_f64 v[30:31], v[28:29], 1.0
	s_mov_b32 s0, 0x9037ab78
	v_add_f64 v[38:39], -v[30:31], 1.0
	s_mov_b32 s1, 0x3e21eeb6
	s_mov_b32 s2, 0x46cc5e42
	v_add_f64 v[38:39], v[38:39], v[28:29]
	s_mov_b32 s3, 0xbda907db
	v_pk_mov_b32 v[28:29], s[0:1], s[0:1] op_sel:[0,1]
	s_mov_b32 s6, 0xa17f65f6
	v_fma_f64 v[42:43], s[2:3], v[36:37], v[28:29]
	s_mov_b32 s7, 0xbe927e4f
	s_mov_b32 s14, 0x19f4ec90
	v_fma_f64 v[42:43], v[36:37], v[42:43], s[6:7]
	s_mov_b32 s15, 0x3efa01a0
	;; [unrolled: 3-line block ×4, first 2 shown]
	v_mul_f64 v[40:41], v[36:37], v[36:37]
	v_fma_f64 v[42:43], v[36:37], v[42:43], s[20:21]
	v_fma_f64 v[38:39], v[16:17], -v[26:27], v[38:39]
	s_mov_b32 s0, 0xb42fdfa7
	v_fmac_f64_e32 v[38:39], v[40:41], v[42:43]
	s_mov_b32 s1, 0xbe5ae600
	s_mov_b32 s22, 0xf9a43bb8
	v_add_f64 v[38:39], v[30:31], v[38:39]
	s_mov_b32 s23, 0x3de5e0b2
	v_pk_mov_b32 v[30:31], s[0:1], s[0:1] op_sel:[0,1]
	s_mov_b32 s24, 0x796cde01
	v_fma_f64 v[40:41], s[22:23], v[36:37], v[30:31]
	s_mov_b32 s25, 0x3ec71de3
	s_mov_b32 s26, 0x19e83e5c
	v_fma_f64 v[40:41], v[36:37], v[40:41], s[24:25]
	s_mov_b32 s27, 0xbf2a01a0
	;; [unrolled: 3-line block ×3, first 2 shown]
	v_fma_f64 v[40:41], v[36:37], v[40:41], s[28:29]
	v_mul_f64 v[42:43], v[16:17], -v[36:37]
	v_mul_f64 v[44:45], v[26:27], 0.5
	v_fmac_f64_e32 v[44:45], v[42:43], v[40:41]
	v_fma_f64 v[26:27], v[36:37], v[44:45], -v[26:27]
	s_mov_b32 s31, 0xbfc55555
	s_mov_b32 s30, s20
	v_fmac_f64_e32 v[26:27], s[30:31], v[42:43]
	v_add_f64 v[16:17], v[16:17], -v[26:27]
	v_and_b32_e32 v26, 1, v35
	v_xor_b32_e32 v17, 0x80000000, v17
	v_cmp_eq_u32_e32 vcc, 0, v26
	v_cndmask_b32_e32 v26, v16, v38, vcc
	v_cndmask_b32_e32 v16, v17, v39, vcc
	v_lshlrev_b32_e32 v17, 30, v35
	v_and_b32_e32 v17, 0x80000000, v17
	v_xor_b32_e32 v27, v16, v17
	v_mov_b32_e32 v16, 0
	v_mov_b32_e32 v17, 0x412e8480
	s_mov_b32 s18, 0
	v_fmac_f64_e64 v[16:17], s[12:13], s[12:13]
	s_brev_b32 s19, 8
	v_cmp_gt_f64_e32 vcc, s[18:19], v[16:17]
	v_cndmask_b32_e64 v35, 0, 1, vcc
	v_lshlrev_b32_e32 v35, 8, v35
	v_ldexp_f64 v[16:17], v[16:17], v35
	v_rsq_f64_e32 v[36:37], v[16:17]
	s_movk_i32 s33, 0x1f8
	s_and_b64 s[34:35], vcc, exec
	v_cmp_class_f64_e64 s[0:1], v[8:9], s33
	v_mul_f64 v[38:39], v[16:17], v[36:37]
	v_mul_f64 v[36:37], v[36:37], 0.5
	v_fma_f64 v[40:41], -v[36:37], v[38:39], 0.5
	v_fmac_f64_e32 v[38:39], v[38:39], v[40:41]
	v_fma_f64 v[42:43], -v[38:39], v[38:39], v[16:17]
	v_fmac_f64_e32 v[36:37], v[36:37], v[40:41]
	v_fmac_f64_e32 v[38:39], v[42:43], v[36:37]
	v_fma_f64 v[40:41], -v[38:39], v[38:39], v[16:17]
	v_fmac_f64_e32 v[38:39], v[40:41], v[36:37]
	s_cselect_b32 s33, 0xffffff80, 0
	v_mov_b32_e32 v48, 0x260
	v_ldexp_f64 v[36:37], v[38:39], s33
	v_cmp_class_f64_e32 vcc, v[16:17], v48
	v_cndmask_b32_e32 v37, v37, v17, vcc
	v_cndmask_b32_e32 v36, v36, v16, vcc
	v_mul_f64 v[16:17], v[4:5], v[4:5]
	v_mul_f64 v[38:39], v[16:17], -0.5
	v_fma_f64 v[44:45], s[2:3], v[16:17], v[28:29]
	v_add_f64 v[40:41], v[38:39], 1.0
	v_fma_f64 v[44:45], v[16:17], v[44:45], s[6:7]
	v_add_f64 v[42:43], -v[40:41], 1.0
	v_fma_f64 v[44:45], v[16:17], v[44:45], s[14:15]
	v_add_f64 v[38:39], v[42:43], v[38:39]
	v_fma_f64 v[44:45], v[16:17], v[44:45], s[16:17]
	v_mul_f64 v[42:43], v[16:17], v[16:17]
	v_fma_f64 v[44:45], v[16:17], v[44:45], s[20:21]
	v_fma_f64 v[38:39], v[4:5], -v[14:15], v[38:39]
	v_fmac_f64_e32 v[38:39], v[42:43], v[44:45]
	v_add_f64 v[38:39], v[40:41], v[38:39]
	v_fma_f64 v[40:41], s[22:23], v[16:17], v[30:31]
	v_fma_f64 v[40:41], v[16:17], v[40:41], s[24:25]
	;; [unrolled: 1-line block ×4, first 2 shown]
	v_mul_f64 v[42:43], v[4:5], -v[16:17]
	v_mul_f64 v[44:45], v[14:15], 0.5
	v_fmac_f64_e32 v[44:45], v[42:43], v[40:41]
	v_fma_f64 v[14:15], v[16:17], v[44:45], -v[14:15]
	v_fmac_f64_e32 v[14:15], s[30:31], v[42:43]
	v_add_f64 v[4:5], v[4:5], -v[14:15]
	v_and_b32_e32 v14, 1, v32
	v_cmp_eq_u32_e32 vcc, 0, v14
	v_cndmask_b32_e32 v38, v38, v4, vcc
	v_lshlrev_b32_e32 v4, 30, v32
	v_xor_b32_e32 v4, v4, v9
	v_and_b32_e32 v32, 0x80000000, v4
	v_cvt_i32_f64_e32 v4, s[8:9]
	v_cndmask_b32_e32 v39, v39, v5, vcc
	v_cvt_f64_i32_e32 v[4:5], v4
	s_mov_b32 s8, 0
	v_add_f64 v[4:5], v[4:5], 1.0
	s_mov_b32 s9, 0x405b8000
	v_div_scale_f64 v[14:15], s[34:35], v[4:5], v[4:5], s[8:9]
	v_rcp_f64_e32 v[16:17], v[14:15]
	v_add_f64 v[0:1], v[0:1], 1.0
	v_add_f64 v[2:3], v[2:3], 1.0
	v_mov_b32_e32 v35, 0x7ff80000
	v_fma_f64 v[40:41], -v[14:15], v[16:17], 1.0
	v_fmac_f64_e32 v[16:17], v[16:17], v[40:41]
	v_fma_f64 v[40:41], -v[14:15], v[16:17], 1.0
	v_fmac_f64_e32 v[16:17], v[16:17], v[40:41]
	v_div_scale_f64 v[40:41], vcc, s[8:9], v[4:5], s[8:9]
	v_mul_f64 v[42:43], v[40:41], v[16:17]
	v_fma_f64 v[14:15], -v[14:15], v[42:43], v[40:41]
	v_xor_b32_e32 v32, v39, v32
	s_nop 0
	v_div_fmas_f64 v[14:15], v[14:15], v[16:17], v[42:43]
	v_mov_b32_e32 v16, 0
	v_div_fixup_f64 v[4:5], v[14:15], v[4:5], s[8:9]
	v_mov_b32_e32 v17, 0xc04b8000
	v_fma_f64 v[14:15], v[4:5], v[0:1], v[16:17]
	v_mul_f64 v[0:1], v[18:19], v[18:19]
	v_mul_f64 v[40:41], v[0:1], -0.5
	v_fma_f64 v[46:47], s[2:3], v[0:1], v[28:29]
	v_add_f64 v[42:43], v[40:41], 1.0
	v_fma_f64 v[46:47], v[0:1], v[46:47], s[6:7]
	v_add_f64 v[44:45], -v[42:43], 1.0
	v_fma_f64 v[46:47], v[0:1], v[46:47], s[14:15]
	v_add_f64 v[40:41], v[44:45], v[40:41]
	v_fma_f64 v[46:47], v[0:1], v[46:47], s[16:17]
	v_mul_f64 v[44:45], v[0:1], v[0:1]
	v_fma_f64 v[46:47], v[0:1], v[46:47], s[20:21]
	v_fma_f64 v[40:41], v[18:19], -v[20:21], v[40:41]
	v_fmac_f64_e32 v[40:41], v[44:45], v[46:47]
	v_add_f64 v[40:41], v[42:43], v[40:41]
	v_fma_f64 v[42:43], s[22:23], v[0:1], v[30:31]
	v_fma_f64 v[42:43], v[0:1], v[42:43], s[24:25]
	;; [unrolled: 1-line block ×4, first 2 shown]
	v_mul_f64 v[44:45], v[18:19], -v[0:1]
	v_mul_f64 v[46:47], v[20:21], 0.5
	v_fmac_f64_e32 v[46:47], v[44:45], v[42:43]
	v_fma_f64 v[0:1], v[0:1], v[46:47], -v[20:21]
	v_fmac_f64_e32 v[0:1], s[30:31], v[44:45]
	v_add_f64 v[0:1], v[18:19], -v[0:1]
	v_and_b32_e32 v18, 1, v33
	v_xor_b32_e32 v1, 0x80000000, v1
	v_cmp_eq_u32_e32 vcc, 0, v18
	v_lshlrev_b32_e32 v18, 30, v33
	v_fmac_f64_e32 v[16:17], v[4:5], v[2:3]
	v_mul_f64 v[2:3], v[22:23], v[22:23]
	v_cndmask_b32_e32 v1, v1, v41, vcc
	v_and_b32_e32 v18, 0x80000000, v18
	v_mul_f64 v[4:5], v[2:3], -0.5
	v_fmac_f64_e32 v[28:29], s[2:3], v[2:3]
	v_xor_b32_e32 v1, v1, v18
	v_add_f64 v[18:19], v[4:5], 1.0
	v_fma_f64 v[28:29], v[2:3], v[28:29], s[6:7]
	v_add_f64 v[20:21], -v[18:19], 1.0
	v_fma_f64 v[28:29], v[2:3], v[28:29], s[14:15]
	v_add_f64 v[4:5], v[20:21], v[4:5]
	v_fma_f64 v[28:29], v[2:3], v[28:29], s[16:17]
	v_mul_f64 v[20:21], v[2:3], v[2:3]
	v_fma_f64 v[28:29], v[2:3], v[28:29], s[20:21]
	v_fma_f64 v[4:5], v[22:23], -v[24:25], v[4:5]
	v_fmac_f64_e32 v[4:5], v[20:21], v[28:29]
	v_fmac_f64_e32 v[30:31], s[22:23], v[2:3]
	v_add_f64 v[4:5], v[18:19], v[4:5]
	v_fma_f64 v[18:19], v[2:3], v[30:31], s[24:25]
	v_fma_f64 v[18:19], v[2:3], v[18:19], s[26:27]
	;; [unrolled: 1-line block ×3, first 2 shown]
	v_mul_f64 v[20:21], v[22:23], -v[2:3]
	v_mul_f64 v[28:29], v[24:25], 0.5
	v_fmac_f64_e32 v[28:29], v[20:21], v[18:19]
	v_fma_f64 v[2:3], v[2:3], v[28:29], -v[24:25]
	v_fmac_f64_e32 v[2:3], s[30:31], v[20:21]
	v_add_f64 v[20:21], s[12:13], s[12:13]
	buffer_store_dword v20, off, s[96:99], 0 offset:352 ; 4-byte Folded Spill
	s_nop 0
	buffer_store_dword v21, off, s[96:99], 0 offset:356 ; 4-byte Folded Spill
	v_and_b32_e32 v18, 1, v34
	v_cndmask_b32_e32 v0, v0, v40, vcc
	v_add_f64 v[2:3], v[22:23], -v[2:3]
	v_cmp_eq_u32_e32 vcc, 0, v18
	v_cndmask_b32_e32 v2, v4, v2, vcc
	v_lshlrev_b32_e32 v4, 30, v34
	v_xor_b32_e32 v4, v4, v9
	v_cndmask_b32_e64 v0, 0, v0, s[0:1]
	v_cndmask_b32_e64 v1, v35, v1, s[0:1]
	v_cndmask_b32_e32 v3, v5, v3, vcc
	v_and_b32_e32 v4, 0x80000000, v4
	v_cndmask_b32_e64 v38, 0, v38, s[0:1]
	v_cndmask_b32_e64 v39, v35, v32, s[0:1]
	v_mul_f64 v[0:1], v[14:15], v[0:1]
	v_xor_b32_e32 v3, v3, v4
	v_fma_f64 v[0:1], v[36:37], v[38:39], -v[0:1]
	v_cndmask_b32_e64 v2, 0, v2, s[0:1]
	v_cndmask_b32_e64 v3, v35, v3, s[0:1]
	;; [unrolled: 1-line block ×4, first 2 shown]
	v_mul_f64 v[4:5], v[14:15], v[2:3]
	v_mul_f64 v[2:3], v[0:1], v[0:1]
	v_fmac_f64_e32 v[4:5], 0x408f4000, v[26:27]
	v_fmac_f64_e32 v[2:3], v[16:17], v[16:17]
	;; [unrolled: 1-line block ×3, first 2 shown]
	v_fma_f64 v[2:3], -s[12:13], s[12:13], v[2:3]
	v_mul_f64 v[18:19], v[2:3], v[2:3]
	s_mov_b32 s7, 0x3fedd9ad
	s_mov_b32 s6, 0x336a0500
	v_mul_f64 v[20:21], v[20:21], v[4:5]
	v_fmac_f64_e32 v[18:19], v[20:21], v[20:21]
	v_cmp_gt_f64_e32 vcc, s[18:19], v[18:19]
	v_cndmask_b32_e64 v20, 0, 1, vcc
	v_lshlrev_b32_e32 v20, 8, v20
	v_ldexp_f64 v[18:19], v[18:19], v20
	v_rsq_f64_e32 v[20:21], v[18:19]
	v_mul_f64 v[22:23], v[18:19], v[20:21]
	v_mul_f64 v[20:21], v[20:21], 0.5
	v_fma_f64 v[24:25], -v[20:21], v[22:23], 0.5
	v_fmac_f64_e32 v[22:23], v[22:23], v[24:25]
	v_fma_f64 v[26:27], -v[22:23], v[22:23], v[18:19]
	v_fmac_f64_e32 v[20:21], v[20:21], v[24:25]
	v_fmac_f64_e32 v[22:23], v[26:27], v[20:21]
	v_fma_f64 v[24:25], -v[22:23], v[22:23], v[18:19]
	v_mov_b32_e32 v26, 0xffffff80
	v_fmac_f64_e32 v[22:23], v[24:25], v[20:21]
	v_cndmask_b32_e32 v20, 0, v26, vcc
	v_ldexp_f64 v[20:21], v[22:23], v20
	v_cmp_class_f64_e32 vcc, v[18:19], v48
	v_cndmask_b32_e32 v19, v21, v19, vcc
	v_cndmask_b32_e32 v18, v20, v18, vcc
	v_add_f64 v[2:3], v[2:3], v[18:19]
	v_mul_f64 v[2:3], v[2:3], 0.5
	v_cmp_gt_f64_e32 vcc, s[18:19], v[2:3]
	v_cndmask_b32_e64 v18, 0, 1, vcc
	v_lshlrev_b32_e32 v18, 8, v18
	v_ldexp_f64 v[2:3], v[2:3], v18
	v_rsq_f64_e32 v[18:19], v[2:3]
	v_mul_f64 v[20:21], v[2:3], v[18:19]
	v_mul_f64 v[18:19], v[18:19], 0.5
	v_fma_f64 v[22:23], -v[18:19], v[20:21], 0.5
	v_fmac_f64_e32 v[20:21], v[20:21], v[22:23]
	v_fma_f64 v[24:25], -v[20:21], v[20:21], v[2:3]
	v_fmac_f64_e32 v[18:19], v[18:19], v[22:23]
	v_fmac_f64_e32 v[20:21], v[24:25], v[18:19]
	v_fma_f64 v[22:23], -v[20:21], v[20:21], v[2:3]
	v_fmac_f64_e32 v[20:21], v[22:23], v[18:19]
	v_cndmask_b32_e32 v18, 0, v26, vcc
	v_ldexp_f64 v[18:19], v[20:21], v18
	v_cmp_class_f64_e32 vcc, v[2:3], v48
	v_cndmask_b32_e32 v3, v19, v3, vcc
	v_cndmask_b32_e32 v2, v18, v2, vcc
	v_div_scale_f64 v[18:19], s[2:3], v[2:3], v[2:3], v[4:5]
	v_rcp_f64_e32 v[20:21], v[18:19]
	s_mov_b32 s2, 0x9fea6a70
	s_mov_b32 s3, 0x3fa05985
	v_fma_f64 v[22:23], -v[18:19], v[20:21], 1.0
	v_fmac_f64_e32 v[20:21], v[20:21], v[22:23]
	v_fma_f64 v[22:23], -v[18:19], v[20:21], 1.0
	v_fmac_f64_e32 v[20:21], v[20:21], v[22:23]
	v_div_scale_f64 v[22:23], vcc, v[4:5], v[2:3], v[4:5]
	v_mul_f64 v[24:25], v[22:23], v[20:21]
	v_fma_f64 v[18:19], -v[18:19], v[24:25], v[22:23]
	v_mov_b32_e32 v22, 0x78a05eaf
	s_nop 0
	v_div_fmas_f64 v[18:19], v[18:19], v[20:21], v[24:25]
	v_div_fixup_f64 v[18:19], v[18:19], v[2:3], v[4:5]
	v_fma_f64 v[20:21], |v[18:19]|, -0.5, 0.5
	v_mul_f64 v[4:5], v[18:19], v[18:19]
	v_cmp_ge_f64_e64 vcc, |v[18:19]|, 0.5
	v_cndmask_b32_e32 v5, v5, v21, vcc
	v_cndmask_b32_e32 v4, v4, v20, vcc
	v_mov_b32_e32 v23, 0xbf90a5a3
	v_fmac_f64_e32 v[22:23], s[2:3], v[4:5]
	v_mov_b32_e32 v24, 0x37024d6a
	v_mov_b32_e32 v25, 0x3f940521
	v_fmac_f64_e32 v[24:25], v[4:5], v[22:23]
	v_mov_b32_e32 v22, 0x98a70509
	;; [unrolled: 3-line block ×10, first 2 shown]
	v_mov_b32_e32 v23, 0x3fc55555
	v_fmac_f64_e32 v[22:23], v[4:5], v[24:25]
	v_mul_f64 v[22:23], v[4:5], v[22:23]
	v_fma_f64 v[4:5], v[18:19], v[22:23], v[18:19]
	v_mov_b32_e32 v24, 0xeeb562d6
	v_mov_b32_e32 v25, 0x3ffaf154
	v_fma_f64 v[4:5], s[6:7], v[24:25], -v[4:5]
	s_and_saveexec_b64 s[2:3], vcc
	s_cbranch_execz .LBB0_20
; %bb.19:
	v_rsq_f64_e32 v[4:5], v[20:21]
	v_cmp_eq_f64_e32 vcc, 0, v[20:21]
	s_mov_b32 s7, 0x3ffdd9ad
	v_mul_f64 v[26:27], v[20:21], v[4:5]
	v_mul_f64 v[4:5], v[4:5], 0.5
	v_fma_f64 v[28:29], -v[4:5], v[26:27], 0.5
	v_fmac_f64_e32 v[26:27], v[26:27], v[28:29]
	v_fmac_f64_e32 v[4:5], v[4:5], v[28:29]
	v_fma_f64 v[28:29], -v[26:27], v[26:27], v[20:21]
	v_fmac_f64_e32 v[26:27], v[28:29], v[4:5]
	v_cndmask_b32_e32 v5, v27, v21, vcc
	v_cndmask_b32_e32 v4, v26, v20, vcc
	v_add_f64 v[32:33], v[4:5], v[4:5]
	v_rcp_f64_e32 v[34:35], v[32:33]
	v_mul_f64 v[26:27], v[4:5], v[4:5]
	v_add_f64 v[30:31], v[20:21], -v[26:27]
	v_add_f64 v[20:21], v[20:21], -v[30:31]
	v_fma_f64 v[28:29], v[4:5], v[4:5], -v[26:27]
	v_add_f64 v[20:21], v[20:21], -v[26:27]
	v_fma_f64 v[26:27], -v[32:33], v[34:35], 1.0
	v_fmac_f64_e32 v[34:35], v[26:27], v[34:35]
	v_add_f64 v[20:21], v[20:21], -v[28:29]
	v_fma_f64 v[26:27], -v[32:33], v[34:35], 1.0
	v_add_f64 v[20:21], v[30:31], v[20:21]
	v_fmac_f64_e32 v[34:35], v[26:27], v[34:35]
	v_mul_f64 v[26:27], v[20:21], v[34:35]
	v_fma_f64 v[20:21], -v[32:33], v[26:27], v[20:21]
	v_fmac_f64_e32 v[26:27], v[20:21], v[34:35]
	v_cndmask_b32_e64 v21, v27, 0, vcc
	v_cndmask_b32_e64 v20, v26, 0, vcc
	v_add_f64 v[26:27], v[4:5], v[20:21]
	v_add_f64 v[4:5], v[26:27], -v[4:5]
	v_add_f64 v[4:5], v[20:21], -v[4:5]
	v_fma_f64 v[20:21], v[26:27], v[22:23], v[26:27]
	v_fmac_f64_e32 v[4:5], v[26:27], v[22:23]
	v_mul_f64 v[20:21], v[20:21], -2.0
	v_add_f64 v[4:5], v[26:27], v[4:5]
	v_fmac_f64_e32 v[20:21], s[6:7], v[24:25]
	v_add_f64 v[4:5], v[4:5], v[4:5]
	v_cmp_gt_f64_e32 vcc, 0, v[18:19]
	v_cndmask_b32_e32 v5, v5, v21, vcc
	v_cndmask_b32_e32 v4, v4, v20, vcc
	v_mov_b32_e32 v20, 0x54442d18
	v_cmp_neq_f64_e32 vcc, -1.0, v[18:19]
	v_cndmask_b32_e32 v4, v20, v4, vcc
	v_mov_b32_e32 v20, 0x400921fb
	v_cndmask_b32_e32 v5, v20, v5, vcc
	v_cmp_neq_f64_e32 vcc, 1.0, v[18:19]
	v_cndmask_b32_e32 v5, 0, v5, vcc
	v_cndmask_b32_e32 v4, 0, v4, vcc
.LBB0_20:
	s_or_b64 exec, exec, s[2:3]
	s_mov_b32 s2, 0
	s_mov_b32 s3, 0x41d00000
	v_cmp_nlt_f64_e64 s[14:15], |v[4:5]|, s[2:3]
	v_trig_preop_f64 v[34:35], |v[4:5]|, 0
	v_trig_preop_f64 v[32:33], |v[4:5]|, 1
	;; [unrolled: 1-line block ×3, first 2 shown]
                                        ; implicit-def: $vgpr80
                                        ; implicit-def: $vgpr18_vgpr19
                                        ; implicit-def: $vgpr20_vgpr21
	s_and_saveexec_b64 s[2:3], s[14:15]
	s_xor_b64 s[6:7], exec, s[2:3]
	s_cbranch_execz .LBB0_22
; %bb.21:
	s_mov_b32 s2, 0
	s_mov_b32 s3, 0x7b000000
	s_movk_i32 s8, 0xff80
	v_and_b32_e32 v20, 0x7fffffff, v5
	v_ldexp_f64 v[18:19], |v[4:5]|, s8
	v_cmp_ge_f64_e64 vcc, |v[4:5]|, s[2:3]
	v_cndmask_b32_e32 v19, v20, v19, vcc
	v_cndmask_b32_e32 v18, v4, v18, vcc
	v_mul_f64 v[22:23], v[34:35], v[18:19]
	v_mul_f64 v[20:21], v[32:33], v[18:19]
	v_fma_f64 v[24:25], v[34:35], v[18:19], -v[22:23]
	v_add_f64 v[28:29], v[20:21], v[24:25]
	v_add_f64 v[30:31], v[22:23], v[28:29]
	s_mov_b32 s2, 0
	v_ldexp_f64 v[36:37], v[30:31], -2
	s_mov_b32 s3, 0x7ff00000
	v_fract_f64_e32 v[38:39], v[36:37]
	v_cmp_neq_f64_e64 vcc, |v[36:37]|, s[2:3]
	v_cndmask_b32_e32 v37, 0, v39, vcc
	v_cndmask_b32_e32 v36, 0, v38, vcc
	v_add_f64 v[38:39], v[28:29], -v[20:21]
	v_add_f64 v[24:25], v[24:25], -v[38:39]
	;; [unrolled: 1-line block ×4, first 2 shown]
	v_add_f64 v[24:25], v[24:25], v[38:39]
	v_fma_f64 v[20:21], v[32:33], v[18:19], -v[20:21]
	v_mul_f64 v[38:39], v[26:27], v[18:19]
	v_add_f64 v[42:43], v[38:39], v[20:21]
	v_add_f64 v[44:45], v[42:43], v[24:25]
	v_add_f64 v[22:23], v[30:31], -v[22:23]
	v_add_f64 v[30:31], v[44:45], -v[42:43]
	;; [unrolled: 1-line block ×5, first 2 shown]
	v_add_f64 v[24:25], v[24:25], v[30:31]
	v_add_f64 v[30:31], v[42:43], -v[38:39]
	v_add_f64 v[20:21], v[20:21], -v[30:31]
	;; [unrolled: 1-line block ×5, first 2 shown]
	v_add_f64 v[28:29], v[22:23], v[44:45]
	v_add_f64 v[20:21], v[20:21], v[30:31]
	v_add_f64 v[22:23], v[28:29], -v[22:23]
	v_add_f64 v[20:21], v[20:21], v[24:25]
	v_fma_f64 v[18:19], v[26:27], v[18:19], -v[38:39]
	v_add_f64 v[22:23], v[44:45], -v[22:23]
	v_add_f64 v[18:19], v[18:19], v[20:21]
	v_ldexp_f64 v[20:21], v[36:37], 2
	v_add_f64 v[18:19], v[22:23], v[18:19]
	v_add_f64 v[22:23], v[28:29], v[20:21]
	v_mov_b32_e32 v24, 0x40100000
	v_cmp_gt_f64_e32 vcc, 0, v[22:23]
	v_mov_b32_e32 v40, 0
	v_cndmask_b32_e32 v41, 0, v24, vcc
	v_add_f64 v[20:21], v[20:21], v[40:41]
	v_add_f64 v[22:23], v[28:29], v[20:21]
	v_cvt_i32_f64_e32 v24, v[22:23]
	v_cvt_f64_i32_e32 v[22:23], v24
	v_add_f64 v[20:21], v[20:21], -v[22:23]
	v_add_f64 v[22:23], v[28:29], v[20:21]
	v_add_f64 v[20:21], v[22:23], -v[20:21]
	v_add_f64 v[20:21], v[28:29], -v[20:21]
	v_add_f64 v[18:19], v[18:19], v[20:21]
	v_cmp_le_f64_e32 vcc, 0.5, v[22:23]
	v_mov_b32_e32 v20, 0x3ff00000
	v_cndmask_b32_e32 v41, 0, v20, vcc
	v_addc_co_u32_e64 v80, s[2:3], 0, v24, vcc
	v_add_f64 v[20:21], v[22:23], -v[40:41]
	v_add_f64 v[22:23], v[20:21], v[18:19]
	s_mov_b32 s2, 0x54442d18
	v_add_f64 v[20:21], v[22:23], -v[20:21]
	s_mov_b32 s3, 0x3ff921fb
	v_add_f64 v[18:19], v[18:19], -v[20:21]
	v_mul_f64 v[20:21], v[22:23], s[2:3]
	s_mov_b32 s8, 0x33145c07
	v_fma_f64 v[24:25], v[22:23], s[2:3], -v[20:21]
	s_mov_b32 s9, 0x3c91a626
	v_fmac_f64_e32 v[24:25], s[8:9], v[22:23]
	v_fmac_f64_e32 v[24:25], s[2:3], v[18:19]
	v_add_f64 v[18:19], v[20:21], v[24:25]
	v_add_f64 v[20:21], v[18:19], -v[20:21]
	v_add_f64 v[20:21], v[24:25], -v[20:21]
	s_andn2_saveexec_b64 s[2:3], s[6:7]
	s_cbranch_execz .LBB0_24
	s_branch .LBB0_23
.LBB0_22:
	s_andn2_saveexec_b64 s[2:3], s[6:7]
	s_cbranch_execz .LBB0_24
.LBB0_23:
	s_mov_b32 s6, 0x6dc9c883
	s_mov_b32 s7, 0x3fe45f30
	v_mul_f64 v[18:19], |v[4:5]|, s[6:7]
	s_mov_b32 s6, 0x54442d18
	v_rndne_f64_e32 v[22:23], v[18:19]
	s_mov_b32 s7, 0xbff921fb
	v_fma_f64 v[18:19], v[22:23], s[6:7], |v[4:5]|
	s_mov_b32 s7, 0xbc91a626
	s_mov_b32 s6, 0x33145c00
	v_mul_f64 v[24:25], v[22:23], s[6:7]
	v_add_f64 v[30:31], v[18:19], v[24:25]
	v_fma_f64 v[20:21], s[6:7], v[22:23], v[18:19]
	s_mov_b32 s7, 0x3c91a626
	v_add_f64 v[18:19], v[18:19], -v[30:31]
	v_fma_f64 v[28:29], s[6:7], v[22:23], v[24:25]
	v_add_f64 v[18:19], v[18:19], v[24:25]
	v_add_f64 v[24:25], v[30:31], -v[20:21]
	v_add_f64 v[18:19], v[24:25], v[18:19]
	s_mov_b32 s6, 0x252049c0
	v_add_f64 v[24:25], v[18:19], -v[28:29]
	s_mov_b32 s7, 0xb97b839a
	v_fmac_f64_e32 v[24:25], s[6:7], v[22:23]
	v_add_f64 v[18:19], v[20:21], v[24:25]
	v_add_f64 v[20:21], v[18:19], -v[20:21]
	v_add_f64 v[20:21], v[24:25], -v[20:21]
	v_cvt_i32_f64_e32 v80, v[22:23]
.LBB0_24:
	s_or_b64 exec, exec, s[2:3]
                                        ; implicit-def: $vgpr81
                                        ; implicit-def: $vgpr22_vgpr23
                                        ; implicit-def: $vgpr24_vgpr25
	s_and_saveexec_b64 s[2:3], s[14:15]
	s_xor_b64 s[6:7], exec, s[2:3]
	s_cbranch_execz .LBB0_28
; %bb.25:
	s_mov_b32 s2, 0
	s_mov_b32 s3, 0x7b000000
	s_movk_i32 s8, 0xff80
	v_and_b32_e32 v24, 0x7fffffff, v5
	v_ldexp_f64 v[22:23], |v[4:5]|, s8
	v_cmp_ge_f64_e64 vcc, |v[4:5]|, s[2:3]
	v_cndmask_b32_e32 v23, v24, v23, vcc
	v_cndmask_b32_e32 v22, v4, v22, vcc
	v_mul_f64 v[28:29], v[34:35], v[22:23]
	v_mul_f64 v[24:25], v[32:33], v[22:23]
	v_fma_f64 v[30:31], v[34:35], v[22:23], -v[28:29]
	v_add_f64 v[36:37], v[24:25], v[30:31]
	v_add_f64 v[38:39], v[28:29], v[36:37]
	s_mov_b32 s2, 0
	v_ldexp_f64 v[40:41], v[38:39], -2
	s_mov_b32 s3, 0x7ff00000
	v_fract_f64_e32 v[42:43], v[40:41]
	v_cmp_neq_f64_e64 vcc, |v[40:41]|, s[2:3]
	v_cndmask_b32_e32 v41, 0, v43, vcc
	v_cndmask_b32_e32 v40, 0, v42, vcc
	v_add_f64 v[42:43], v[36:37], -v[24:25]
	v_add_f64 v[30:31], v[30:31], -v[42:43]
	;; [unrolled: 1-line block ×4, first 2 shown]
	v_add_f64 v[30:31], v[30:31], v[42:43]
	v_fma_f64 v[24:25], v[32:33], v[22:23], -v[24:25]
	v_mul_f64 v[42:43], v[26:27], v[22:23]
	v_add_f64 v[46:47], v[42:43], v[24:25]
	v_add_f64 v[48:49], v[46:47], v[30:31]
	v_add_f64 v[28:29], v[38:39], -v[28:29]
	v_add_f64 v[38:39], v[48:49], -v[46:47]
	;; [unrolled: 1-line block ×5, first 2 shown]
	v_add_f64 v[30:31], v[30:31], v[38:39]
	v_add_f64 v[38:39], v[46:47], -v[42:43]
	v_add_f64 v[24:25], v[24:25], -v[38:39]
	;; [unrolled: 1-line block ×5, first 2 shown]
	v_add_f64 v[36:37], v[28:29], v[48:49]
	v_add_f64 v[24:25], v[24:25], v[38:39]
	v_add_f64 v[28:29], v[36:37], -v[28:29]
	v_add_f64 v[24:25], v[24:25], v[30:31]
	v_fma_f64 v[22:23], v[26:27], v[22:23], -v[42:43]
	v_add_f64 v[28:29], v[48:49], -v[28:29]
	v_add_f64 v[22:23], v[22:23], v[24:25]
	v_ldexp_f64 v[24:25], v[40:41], 2
	v_add_f64 v[22:23], v[28:29], v[22:23]
	v_add_f64 v[28:29], v[36:37], v[24:25]
	v_mov_b32_e32 v30, 0x40100000
	v_cmp_gt_f64_e32 vcc, 0, v[28:29]
	v_mov_b32_e32 v44, 0
	v_cndmask_b32_e32 v45, 0, v30, vcc
	v_add_f64 v[24:25], v[24:25], v[44:45]
	v_add_f64 v[28:29], v[36:37], v[24:25]
	v_cvt_i32_f64_e32 v30, v[28:29]
	v_cvt_f64_i32_e32 v[28:29], v30
	v_add_f64 v[24:25], v[24:25], -v[28:29]
	v_add_f64 v[28:29], v[36:37], v[24:25]
	v_add_f64 v[24:25], v[28:29], -v[24:25]
	v_add_f64 v[24:25], v[36:37], -v[24:25]
	v_add_f64 v[22:23], v[22:23], v[24:25]
	v_cmp_le_f64_e32 vcc, 0.5, v[28:29]
	v_mov_b32_e32 v24, 0x3ff00000
	v_cndmask_b32_e32 v45, 0, v24, vcc
	v_addc_co_u32_e64 v81, s[2:3], 0, v30, vcc
	v_add_f64 v[24:25], v[28:29], -v[44:45]
	v_add_f64 v[28:29], v[24:25], v[22:23]
	s_mov_b32 s2, 0x54442d18
	v_add_f64 v[24:25], v[28:29], -v[24:25]
	s_mov_b32 s3, 0x3ff921fb
	v_add_f64 v[22:23], v[22:23], -v[24:25]
	v_mul_f64 v[24:25], v[28:29], s[2:3]
	s_mov_b32 s8, 0x33145c07
	v_fma_f64 v[30:31], v[28:29], s[2:3], -v[24:25]
	s_mov_b32 s9, 0x3c91a626
	v_fmac_f64_e32 v[30:31], s[8:9], v[28:29]
	v_fmac_f64_e32 v[30:31], s[2:3], v[22:23]
	v_add_f64 v[22:23], v[24:25], v[30:31]
	v_add_f64 v[24:25], v[22:23], -v[24:25]
	v_add_f64 v[24:25], v[30:31], -v[24:25]
	s_andn2_saveexec_b64 s[2:3], s[6:7]
	s_cbranch_execnz .LBB0_29
.LBB0_26:
	s_or_b64 exec, exec, s[2:3]
	s_and_b64 vcc, exec, s[10:11]
	s_cbranch_vccz .LBB0_30
.LBB0_27:
	s_mov_b32 s2, 0
	s_mov_b32 s3, 0x7b000000
	s_movk_i32 s6, 0xff80
	v_and_b32_e32 v30, 0x7fffffff, v9
	v_ldexp_f64 v[28:29], |v[8:9]|, s6
	v_cmp_ge_f64_e64 vcc, |v[8:9]|, s[2:3]
	v_cndmask_b32_e32 v29, v30, v29, vcc
	v_cndmask_b32_e32 v28, v8, v28, vcc
	v_mul_f64 v[36:37], v[12:13], v[28:29]
	v_mul_f64 v[30:31], v[10:11], v[28:29]
	v_fma_f64 v[38:39], v[12:13], v[28:29], -v[36:37]
	v_add_f64 v[40:41], v[30:31], v[38:39]
	v_add_f64 v[42:43], v[36:37], v[40:41]
	s_mov_b32 s2, 0
	v_ldexp_f64 v[44:45], v[42:43], -2
	s_mov_b32 s3, 0x7ff00000
	v_fract_f64_e32 v[46:47], v[44:45]
	v_cmp_neq_f64_e64 vcc, |v[44:45]|, s[2:3]
	v_cndmask_b32_e32 v45, 0, v47, vcc
	v_cndmask_b32_e32 v44, 0, v46, vcc
	v_add_f64 v[46:47], v[40:41], -v[30:31]
	v_add_f64 v[38:39], v[38:39], -v[46:47]
	;; [unrolled: 1-line block ×4, first 2 shown]
	v_add_f64 v[38:39], v[38:39], v[46:47]
	v_fma_f64 v[30:31], v[10:11], v[28:29], -v[30:31]
	v_mul_f64 v[46:47], v[6:7], v[28:29]
	v_add_f64 v[48:49], v[46:47], v[30:31]
	v_add_f64 v[50:51], v[48:49], v[38:39]
	v_add_f64 v[36:37], v[42:43], -v[36:37]
	v_add_f64 v[42:43], v[50:51], -v[48:49]
	;; [unrolled: 1-line block ×5, first 2 shown]
	v_add_f64 v[38:39], v[38:39], v[42:43]
	v_add_f64 v[42:43], v[48:49], -v[46:47]
	v_add_f64 v[30:31], v[30:31], -v[42:43]
	;; [unrolled: 1-line block ×5, first 2 shown]
	v_add_f64 v[40:41], v[36:37], v[50:51]
	v_add_f64 v[30:31], v[30:31], v[42:43]
	v_add_f64 v[36:37], v[40:41], -v[36:37]
	v_add_f64 v[30:31], v[30:31], v[38:39]
	v_fma_f64 v[28:29], v[6:7], v[28:29], -v[46:47]
	v_add_f64 v[36:37], v[50:51], -v[36:37]
	v_add_f64 v[28:29], v[28:29], v[30:31]
	v_ldexp_f64 v[30:31], v[44:45], 2
	v_add_f64 v[28:29], v[36:37], v[28:29]
	v_add_f64 v[36:37], v[40:41], v[30:31]
	v_cmp_gt_f64_e32 vcc, 0, v[36:37]
	s_and_b64 s[2:3], vcc, exec
	s_mov_b32 s8, 0
	s_cselect_b32 s9, 0x40100000, 0
	v_add_f64 v[30:31], v[30:31], s[8:9]
	v_add_f64 v[36:37], v[40:41], v[30:31]
	v_cvt_i32_f64_e32 v38, v[36:37]
	v_cvt_f64_i32_e32 v[36:37], v38
	v_add_f64 v[30:31], v[30:31], -v[36:37]
	v_add_f64 v[36:37], v[40:41], v[30:31]
	v_cmp_le_f64_e32 vcc, 0.5, v[36:37]
	v_add_f64 v[30:31], v[36:37], -v[30:31]
	s_and_b64 s[2:3], vcc, exec
	v_add_f64 v[30:31], v[40:41], -v[30:31]
	s_cselect_b32 s9, 0x3ff00000, 0
	v_add_f64 v[28:29], v[28:29], v[30:31]
	v_addc_co_u32_e64 v82, s[2:3], 0, v38, vcc
	v_add_f64 v[30:31], v[36:37], -s[8:9]
	v_add_f64 v[36:37], v[30:31], v[28:29]
	s_mov_b32 s2, 0x54442d18
	v_add_f64 v[30:31], v[36:37], -v[30:31]
	s_mov_b32 s3, 0x3ff921fb
	v_add_f64 v[28:29], v[28:29], -v[30:31]
	v_mul_f64 v[30:31], v[36:37], s[2:3]
	s_mov_b32 s8, 0x33145c07
	v_fma_f64 v[38:39], v[36:37], s[2:3], -v[30:31]
	s_mov_b32 s9, 0x3c91a626
	v_fmac_f64_e32 v[38:39], s[8:9], v[36:37]
	v_fmac_f64_e32 v[38:39], s[2:3], v[28:29]
	v_add_f64 v[28:29], v[30:31], v[38:39]
	v_add_f64 v[30:31], v[28:29], -v[30:31]
	v_add_f64 v[30:31], v[38:39], -v[30:31]
	s_cbranch_execz .LBB0_31
	s_branch .LBB0_32
.LBB0_28:
	s_andn2_saveexec_b64 s[2:3], s[6:7]
	s_cbranch_execz .LBB0_26
.LBB0_29:
	s_mov_b32 s6, 0x6dc9c883
	s_mov_b32 s7, 0x3fe45f30
	v_mul_f64 v[22:23], |v[4:5]|, s[6:7]
	s_mov_b32 s6, 0x54442d18
	v_rndne_f64_e32 v[28:29], v[22:23]
	s_mov_b32 s7, 0xbff921fb
	v_fma_f64 v[22:23], v[28:29], s[6:7], |v[4:5]|
	s_mov_b32 s7, 0xbc91a626
	s_mov_b32 s6, 0x33145c00
	v_mul_f64 v[30:31], v[28:29], s[6:7]
	v_add_f64 v[38:39], v[22:23], v[30:31]
	v_fma_f64 v[24:25], s[6:7], v[28:29], v[22:23]
	s_mov_b32 s7, 0x3c91a626
	v_add_f64 v[22:23], v[22:23], -v[38:39]
	v_fma_f64 v[36:37], s[6:7], v[28:29], v[30:31]
	v_add_f64 v[22:23], v[22:23], v[30:31]
	v_add_f64 v[30:31], v[38:39], -v[24:25]
	v_add_f64 v[22:23], v[30:31], v[22:23]
	s_mov_b32 s6, 0x252049c0
	v_add_f64 v[30:31], v[22:23], -v[36:37]
	s_mov_b32 s7, 0xb97b839a
	v_fmac_f64_e32 v[30:31], s[6:7], v[28:29]
	v_add_f64 v[22:23], v[24:25], v[30:31]
	v_add_f64 v[24:25], v[22:23], -v[24:25]
	v_add_f64 v[24:25], v[30:31], -v[24:25]
	v_cvt_i32_f64_e32 v81, v[28:29]
	s_or_b64 exec, exec, s[2:3]
	s_and_b64 vcc, exec, s[10:11]
	s_cbranch_vccnz .LBB0_27
.LBB0_30:
                                        ; implicit-def: $vgpr82
                                        ; implicit-def: $vgpr28_vgpr29
                                        ; implicit-def: $vgpr30_vgpr31
.LBB0_31:
	s_mov_b32 s2, 0x6dc9c883
	s_mov_b32 s3, 0x3fe45f30
	v_mul_f64 v[28:29], |v[8:9]|, s[2:3]
	s_mov_b32 s2, 0x54442d18
	v_rndne_f64_e32 v[36:37], v[28:29]
	s_mov_b32 s3, 0xbff921fb
	v_fma_f64 v[28:29], v[36:37], s[2:3], |v[8:9]|
	s_mov_b32 s3, 0xbc91a626
	s_mov_b32 s2, 0x33145c00
	v_mul_f64 v[38:39], v[36:37], s[2:3]
	v_add_f64 v[42:43], v[28:29], v[38:39]
	v_fma_f64 v[30:31], s[2:3], v[36:37], v[28:29]
	s_mov_b32 s3, 0x3c91a626
	v_add_f64 v[28:29], v[28:29], -v[42:43]
	v_fma_f64 v[40:41], s[2:3], v[36:37], v[38:39]
	v_add_f64 v[28:29], v[28:29], v[38:39]
	v_add_f64 v[38:39], v[42:43], -v[30:31]
	v_add_f64 v[28:29], v[38:39], v[28:29]
	s_mov_b32 s2, 0x252049c0
	v_add_f64 v[38:39], v[28:29], -v[40:41]
	s_mov_b32 s3, 0xb97b839a
	v_fmac_f64_e32 v[38:39], s[2:3], v[36:37]
	v_add_f64 v[28:29], v[30:31], v[38:39]
	v_add_f64 v[30:31], v[28:29], -v[30:31]
	v_add_f64 v[30:31], v[38:39], -v[30:31]
	v_cvt_i32_f64_e32 v82, v[36:37]
.LBB0_32:
	v_max_f64 v[36:37], |v[16:17]|, |v[16:17]|
	v_max_f64 v[38:39], |v[0:1]|, |v[0:1]|
	v_max_f64 v[40:41], v[38:39], v[36:37]
	v_min_f64 v[36:37], v[38:39], v[36:37]
	v_div_scale_f64 v[38:39], s[2:3], v[40:41], v[40:41], v[36:37]
	v_rcp_f64_e32 v[42:43], v[38:39]
	s_mov_b32 s2, 0xb5e68a13
	s_mov_b32 s3, 0x3eeba404
	;; [unrolled: 1-line block ×3, first 2 shown]
	v_fma_f64 v[44:45], -v[38:39], v[42:43], 1.0
	v_fmac_f64_e32 v[42:43], v[42:43], v[44:45]
	v_fma_f64 v[44:45], -v[38:39], v[42:43], 1.0
	v_fmac_f64_e32 v[42:43], v[42:43], v[44:45]
	v_div_scale_f64 v[44:45], vcc, v[36:37], v[40:41], v[36:37]
	v_mul_f64 v[46:47], v[44:45], v[42:43]
	v_fma_f64 v[38:39], -v[38:39], v[46:47], v[44:45]
	s_mov_b32 s17, 0x3ff921fb
	s_nop 0
	v_div_fmas_f64 v[38:39], v[38:39], v[42:43], v[46:47]
	v_div_fixup_f64 v[36:37], v[38:39], v[40:41], v[36:37]
	v_mul_f64 v[38:39], v[36:37], v[36:37]
	v_mov_b32_e32 v40, 0xbd3237f4
	v_mov_b32_e32 v41, 0xbf23e260
	v_fmac_f64_e32 v[40:41], s[2:3], v[38:39]
	v_mov_b32_e32 v42, 0x69efb384
	v_mov_b32_e32 v43, 0x3f4b2bb0
	v_fmac_f64_e32 v[42:43], v[38:39], v[40:41]
	;; [unrolled: 3-line block ×19, first 2 shown]
	v_mul_f64 v[38:39], v[38:39], v[40:41]
	v_fmac_f64_e32 v[36:37], v[36:37], v[38:39]
	v_mov_b32_e32 v38, 0x54442d18
	v_mov_b32_e32 v39, 0x7f3321d2
	v_cmp_gt_i32_e32 vcc, 0, v1
	s_movk_i32 s2, 0x204
	v_cndmask_b32_e32 v40, v38, v39, vcc
	v_mov_b32_e32 v38, 0x3fe921fb
	v_mov_b32_e32 v39, 0x4002d97c
	v_cmp_class_f64_e64 s[6:7], v[16:17], s2
	v_cmp_class_f64_e64 s[8:9], v[0:1], s2
	v_cndmask_b32_e32 v38, v38, v39, vcc
	s_brev_b32 s2, -2
	v_bfi_b32 v41, s2, v38, v17
	v_ashrrev_i32_e32 v38, 31, v1
	v_and_b32_e32 v42, 0x400921fb, v38
	v_and_b32_e32 v43, 0x54442d18, v38
	v_add_f64 v[38:39], -v[36:37], s[16:17]
	v_cmp_lt_f64_e64 s[2:3], |v[0:1]|, |v[16:17]|
	s_mov_b32 s19, 0x400921fb
	v_cndmask_b32_e64 v37, v37, v39, s[2:3]
	v_cndmask_b32_e64 v36, v36, v38, s[2:3]
	s_mov_b32 s18, s16
	v_add_f64 v[38:39], -v[36:37], s[18:19]
	v_cndmask_b32_e32 v37, v37, v39, vcc
	v_cndmask_b32_e32 v36, v36, v38, vcc
	v_cmp_eq_f64_e32 vcc, 0, v[16:17]
	v_cndmask_b32_e32 v36, v36, v43, vcc
	v_cndmask_b32_e32 v37, v37, v42, vcc
	s_and_b64 vcc, s[6:7], s[8:9]
	v_cndmask_b32_e32 v51, v37, v41, vcc
	v_cndmask_b32_e32 v50, v36, v40, vcc
	v_and_b32_e32 v36, 0x7fffffff, v51
	v_mov_b32_e32 v37, 0x7ff80000
	v_cmp_u_f64_e64 s[2:3], v[0:1], v[16:17]
	s_mov_b32 s6, 0
	v_cndmask_b32_e64 v53, v36, v37, s[2:3]
	v_cndmask_b32_e64 v52, v50, 0, s[2:3]
	s_mov_b32 s7, 0x41d00000
	v_cmp_ngt_f64_e64 s[6:7], s[6:7], v[52:53]
	v_trig_preop_f64 v[60:61], v[52:53], 0
	v_trig_preop_f64 v[42:43], v[52:53], 1
	;; [unrolled: 1-line block ×3, first 2 shown]
                                        ; implicit-def: $vgpr85
                                        ; implicit-def: $vgpr40_vgpr41
                                        ; implicit-def: $vgpr44_vgpr45
	s_and_saveexec_b64 s[8:9], s[6:7]
	s_xor_b64 s[18:19], exec, s[8:9]
	s_cbranch_execz .LBB0_36
; %bb.33:
	s_mov_b32 s8, 0
	s_mov_b32 s9, 0x7b000000
	s_movk_i32 s20, 0xff80
	v_ldexp_f64 v[0:1], v[52:53], s20
	v_cmp_le_f64_e32 vcc, s[8:9], v[52:53]
	v_cndmask_b32_e32 v1, v53, v1, vcc
	v_cndmask_b32_e32 v0, v52, v0, vcc
	v_mul_f64 v[40:41], v[60:61], v[0:1]
	v_mul_f64 v[36:37], v[42:43], v[0:1]
	v_fma_f64 v[44:45], v[60:61], v[0:1], -v[40:41]
	v_add_f64 v[46:47], v[36:37], v[44:45]
	v_add_f64 v[48:49], v[40:41], v[46:47]
	s_mov_b32 s8, 0
	v_ldexp_f64 v[54:55], v[48:49], -2
	s_mov_b32 s9, 0x7ff00000
	v_fract_f64_e32 v[56:57], v[54:55]
	v_cmp_neq_f64_e64 vcc, |v[54:55]|, s[8:9]
	v_cndmask_b32_e32 v55, 0, v57, vcc
	v_cndmask_b32_e32 v54, 0, v56, vcc
	v_add_f64 v[56:57], v[46:47], -v[36:37]
	v_add_f64 v[44:45], v[44:45], -v[56:57]
	;; [unrolled: 1-line block ×4, first 2 shown]
	v_add_f64 v[44:45], v[44:45], v[56:57]
	v_fma_f64 v[36:37], v[42:43], v[0:1], -v[36:37]
	v_mul_f64 v[56:57], v[38:39], v[0:1]
	v_add_f64 v[62:63], v[56:57], v[36:37]
	v_add_f64 v[64:65], v[62:63], v[44:45]
	v_add_f64 v[40:41], v[48:49], -v[40:41]
	v_add_f64 v[48:49], v[64:65], -v[62:63]
	;; [unrolled: 1-line block ×5, first 2 shown]
	v_add_f64 v[44:45], v[44:45], v[48:49]
	v_add_f64 v[48:49], v[62:63], -v[56:57]
	v_add_f64 v[36:37], v[36:37], -v[48:49]
	;; [unrolled: 1-line block ×5, first 2 shown]
	v_add_f64 v[46:47], v[40:41], v[64:65]
	v_add_f64 v[36:37], v[36:37], v[48:49]
	v_add_f64 v[40:41], v[46:47], -v[40:41]
	v_add_f64 v[36:37], v[36:37], v[44:45]
	v_fma_f64 v[0:1], v[38:39], v[0:1], -v[56:57]
	v_add_f64 v[40:41], v[64:65], -v[40:41]
	v_add_f64 v[0:1], v[0:1], v[36:37]
	v_ldexp_f64 v[36:37], v[54:55], 2
	v_add_f64 v[0:1], v[40:41], v[0:1]
	v_add_f64 v[40:41], v[46:47], v[36:37]
	v_mov_b32_e32 v44, 0x40100000
	v_cmp_gt_f64_e32 vcc, 0, v[40:41]
	v_mov_b32_e32 v58, 0
	v_cndmask_b32_e32 v59, 0, v44, vcc
	v_add_f64 v[36:37], v[36:37], v[58:59]
	v_add_f64 v[40:41], v[46:47], v[36:37]
	v_cvt_i32_f64_e32 v44, v[40:41]
	v_cvt_f64_i32_e32 v[40:41], v44
	v_add_f64 v[36:37], v[36:37], -v[40:41]
	v_add_f64 v[40:41], v[46:47], v[36:37]
	v_add_f64 v[36:37], v[40:41], -v[36:37]
	v_add_f64 v[36:37], v[46:47], -v[36:37]
	v_add_f64 v[0:1], v[0:1], v[36:37]
	v_cmp_le_f64_e32 vcc, 0.5, v[40:41]
	v_mov_b32_e32 v36, 0x3ff00000
	v_cndmask_b32_e32 v59, 0, v36, vcc
	v_add_f64 v[36:37], v[40:41], -v[58:59]
	v_add_f64 v[40:41], v[36:37], v[0:1]
	v_addc_co_u32_e64 v85, s[8:9], 0, v44, vcc
	v_add_f64 v[36:37], v[40:41], -v[36:37]
	v_add_f64 v[0:1], v[0:1], -v[36:37]
	v_mul_f64 v[36:37], v[40:41], s[16:17]
	s_mov_b32 s8, 0x33145c07
	v_fma_f64 v[44:45], v[40:41], s[16:17], -v[36:37]
	s_mov_b32 s9, 0x3c91a626
	v_fmac_f64_e32 v[44:45], s[8:9], v[40:41]
	v_fmac_f64_e32 v[44:45], s[16:17], v[0:1]
	v_add_f64 v[40:41], v[36:37], v[44:45]
	v_add_f64 v[0:1], v[40:41], -v[36:37]
	v_add_f64 v[44:45], v[44:45], -v[0:1]
	s_andn2_saveexec_b64 s[8:9], s[18:19]
	s_cbranch_execnz .LBB0_37
.LBB0_34:
	s_or_b64 exec, exec, s[8:9]
	s_and_b64 vcc, exec, s[10:11]
	s_cbranch_vccz .LBB0_38
.LBB0_35:
	s_mov_b32 s8, 0
	s_mov_b32 s9, 0x7b000000
	s_movk_i32 s16, 0xff80
	v_and_b32_e32 v36, 0x7fffffff, v9
	v_ldexp_f64 v[0:1], |v[8:9]|, s16
	v_cmp_ge_f64_e64 vcc, |v[8:9]|, s[8:9]
	v_cndmask_b32_e32 v1, v36, v1, vcc
	v_cndmask_b32_e32 v0, v8, v0, vcc
	v_mul_f64 v[46:47], v[12:13], v[0:1]
	v_mul_f64 v[36:37], v[10:11], v[0:1]
	v_fma_f64 v[48:49], v[12:13], v[0:1], -v[46:47]
	v_add_f64 v[54:55], v[36:37], v[48:49]
	v_add_f64 v[56:57], v[46:47], v[54:55]
	s_mov_b32 s8, 0
	v_ldexp_f64 v[58:59], v[56:57], -2
	s_mov_b32 s9, 0x7ff00000
	v_fract_f64_e32 v[62:63], v[58:59]
	v_cmp_neq_f64_e64 vcc, |v[58:59]|, s[8:9]
	v_cndmask_b32_e32 v59, 0, v63, vcc
	v_cndmask_b32_e32 v58, 0, v62, vcc
	v_add_f64 v[62:63], v[54:55], -v[36:37]
	v_add_f64 v[48:49], v[48:49], -v[62:63]
	;; [unrolled: 1-line block ×4, first 2 shown]
	v_add_f64 v[48:49], v[48:49], v[62:63]
	v_fma_f64 v[36:37], v[10:11], v[0:1], -v[36:37]
	v_mul_f64 v[62:63], v[6:7], v[0:1]
	v_add_f64 v[64:65], v[62:63], v[36:37]
	v_add_f64 v[66:67], v[64:65], v[48:49]
	v_add_f64 v[46:47], v[56:57], -v[46:47]
	v_add_f64 v[56:57], v[66:67], -v[64:65]
	;; [unrolled: 1-line block ×5, first 2 shown]
	v_add_f64 v[48:49], v[48:49], v[56:57]
	v_add_f64 v[56:57], v[64:65], -v[62:63]
	v_add_f64 v[36:37], v[36:37], -v[56:57]
	;; [unrolled: 1-line block ×5, first 2 shown]
	v_add_f64 v[54:55], v[46:47], v[66:67]
	v_add_f64 v[36:37], v[36:37], v[56:57]
	v_add_f64 v[46:47], v[54:55], -v[46:47]
	v_add_f64 v[36:37], v[36:37], v[48:49]
	v_fma_f64 v[0:1], v[6:7], v[0:1], -v[62:63]
	v_add_f64 v[46:47], v[66:67], -v[46:47]
	v_add_f64 v[0:1], v[0:1], v[36:37]
	v_ldexp_f64 v[36:37], v[58:59], 2
	v_add_f64 v[0:1], v[46:47], v[0:1]
	v_add_f64 v[46:47], v[54:55], v[36:37]
	v_cmp_gt_f64_e32 vcc, 0, v[46:47]
	s_and_b64 s[8:9], vcc, exec
	s_mov_b32 s18, 0
	s_cselect_b32 s19, 0x40100000, 0
	v_add_f64 v[36:37], v[36:37], s[18:19]
	v_add_f64 v[46:47], v[54:55], v[36:37]
	v_cvt_i32_f64_e32 v48, v[46:47]
	v_cvt_f64_i32_e32 v[46:47], v48
	v_add_f64 v[36:37], v[36:37], -v[46:47]
	v_add_f64 v[46:47], v[54:55], v[36:37]
	v_cmp_le_f64_e32 vcc, 0.5, v[46:47]
	v_add_f64 v[36:37], v[46:47], -v[36:37]
	s_and_b64 s[8:9], vcc, exec
	v_add_f64 v[36:37], v[54:55], -v[36:37]
	v_addc_co_u32_e64 v83, s[8:9], 0, v48, vcc
	s_cselect_b32 s19, 0x3ff00000, 0
	v_add_f64 v[0:1], v[0:1], v[36:37]
	v_add_f64 v[36:37], v[46:47], -s[18:19]
	s_mov_b32 s8, 0x54442d18
	v_add_f64 v[46:47], v[36:37], v[0:1]
	s_mov_b32 s9, 0x3ff921fb
	v_mul_f64 v[48:49], v[46:47], s[8:9]
	s_mov_b32 s18, 0x33145c07
	v_add_f64 v[36:37], v[46:47], -v[36:37]
	v_fma_f64 v[54:55], v[46:47], s[8:9], -v[48:49]
	s_mov_b32 s19, 0x3c91a626
	v_add_f64 v[0:1], v[0:1], -v[36:37]
	v_fmac_f64_e32 v[54:55], s[18:19], v[46:47]
	v_fmac_f64_e32 v[54:55], s[8:9], v[0:1]
	v_add_f64 v[36:37], v[48:49], v[54:55]
	v_add_f64 v[0:1], v[36:37], -v[48:49]
	v_add_f64 v[0:1], v[54:55], -v[0:1]
	s_cbranch_execz .LBB0_39
	s_branch .LBB0_40
.LBB0_36:
	s_andn2_saveexec_b64 s[8:9], s[18:19]
	s_cbranch_execz .LBB0_34
.LBB0_37:
	s_mov_b32 s16, 0x6dc9c883
	s_mov_b32 s17, 0x3fe45f30
	v_mul_f64 v[0:1], v[52:53], s[16:17]
	s_mov_b32 s16, 0x54442d18
	v_rndne_f64_e32 v[0:1], v[0:1]
	s_mov_b32 s17, 0xbff921fb
	v_fma_f64 v[36:37], s[16:17], v[0:1], v[52:53]
	s_mov_b32 s17, 0xbc91a626
	s_mov_b32 s16, 0x33145c00
	v_mul_f64 v[40:41], v[0:1], s[16:17]
	v_add_f64 v[48:49], v[36:37], v[40:41]
	v_fma_f64 v[44:45], s[16:17], v[0:1], v[36:37]
	s_mov_b32 s17, 0x3c91a626
	v_add_f64 v[36:37], v[36:37], -v[48:49]
	v_fma_f64 v[46:47], s[16:17], v[0:1], v[40:41]
	v_add_f64 v[36:37], v[36:37], v[40:41]
	v_add_f64 v[40:41], v[48:49], -v[44:45]
	v_add_f64 v[36:37], v[40:41], v[36:37]
	s_mov_b32 s16, 0x252049c0
	v_add_f64 v[36:37], v[36:37], -v[46:47]
	s_mov_b32 s17, 0xb97b839a
	v_fmac_f64_e32 v[36:37], s[16:17], v[0:1]
	v_add_f64 v[40:41], v[44:45], v[36:37]
	v_add_f64 v[44:45], v[40:41], -v[44:45]
	v_add_f64 v[44:45], v[36:37], -v[44:45]
	v_cvt_i32_f64_e32 v85, v[0:1]
	s_or_b64 exec, exec, s[8:9]
	s_and_b64 vcc, exec, s[10:11]
	s_cbranch_vccnz .LBB0_35
.LBB0_38:
                                        ; implicit-def: $vgpr83
                                        ; implicit-def: $vgpr36_vgpr37
                                        ; implicit-def: $vgpr0_vgpr1
.LBB0_39:
	s_mov_b32 s8, 0x6dc9c883
	s_mov_b32 s9, 0x3fe45f30
	v_mul_f64 v[0:1], |v[8:9]|, s[8:9]
	s_mov_b32 s8, 0x54442d18
	v_rndne_f64_e32 v[46:47], v[0:1]
	s_mov_b32 s9, 0xbff921fb
	v_fma_f64 v[0:1], v[46:47], s[8:9], |v[8:9]|
	s_mov_b32 s9, 0xbc91a626
	s_mov_b32 s8, 0x33145c00
	v_mul_f64 v[36:37], v[46:47], s[8:9]
	v_add_f64 v[56:57], v[0:1], v[36:37]
	v_fma_f64 v[48:49], s[8:9], v[46:47], v[0:1]
	s_mov_b32 s9, 0x3c91a626
	v_add_f64 v[0:1], v[0:1], -v[56:57]
	v_fma_f64 v[54:55], s[8:9], v[46:47], v[36:37]
	v_add_f64 v[0:1], v[0:1], v[36:37]
	v_add_f64 v[36:37], v[56:57], -v[48:49]
	v_add_f64 v[0:1], v[36:37], v[0:1]
	s_mov_b32 s8, 0x252049c0
	v_add_f64 v[0:1], v[0:1], -v[54:55]
	s_mov_b32 s9, 0xb97b839a
	v_fmac_f64_e32 v[0:1], s[8:9], v[46:47]
	v_add_f64 v[36:37], v[48:49], v[0:1]
	v_add_f64 v[48:49], v[36:37], -v[48:49]
	v_add_f64 v[0:1], v[0:1], -v[48:49]
	v_cvt_i32_f64_e32 v83, v[46:47]
.LBB0_40:
                                        ; implicit-def: $vgpr86
                                        ; implicit-def: $vgpr46_vgpr47
                                        ; implicit-def: $vgpr48_vgpr49
	s_and_saveexec_b64 s[8:9], s[14:15]
	s_xor_b64 s[16:17], exec, s[8:9]
	s_cbranch_execz .LBB0_42
; %bb.41:
	s_mov_b32 s8, 0
	s_mov_b32 s9, 0x7b000000
	s_movk_i32 s18, 0xff80
	v_and_b32_e32 v48, 0x7fffffff, v5
	v_ldexp_f64 v[46:47], |v[4:5]|, s18
	v_cmp_ge_f64_e64 vcc, |v[4:5]|, s[8:9]
	v_cndmask_b32_e32 v47, v48, v47, vcc
	v_cndmask_b32_e32 v46, v4, v46, vcc
	v_mul_f64 v[54:55], v[34:35], v[46:47]
	v_mul_f64 v[48:49], v[32:33], v[46:47]
	v_fma_f64 v[56:57], v[34:35], v[46:47], -v[54:55]
	v_add_f64 v[58:59], v[48:49], v[56:57]
	v_add_f64 v[62:63], v[54:55], v[58:59]
	s_mov_b32 s8, 0
	v_ldexp_f64 v[64:65], v[62:63], -2
	s_mov_b32 s9, 0x7ff00000
	v_fract_f64_e32 v[66:67], v[64:65]
	v_cmp_neq_f64_e64 vcc, |v[64:65]|, s[8:9]
	v_cndmask_b32_e32 v65, 0, v67, vcc
	v_cndmask_b32_e32 v64, 0, v66, vcc
	v_add_f64 v[66:67], v[58:59], -v[48:49]
	v_add_f64 v[56:57], v[56:57], -v[66:67]
	;; [unrolled: 1-line block ×4, first 2 shown]
	v_add_f64 v[56:57], v[56:57], v[66:67]
	v_fma_f64 v[48:49], v[32:33], v[46:47], -v[48:49]
	v_mul_f64 v[66:67], v[26:27], v[46:47]
	v_add_f64 v[70:71], v[66:67], v[48:49]
	v_add_f64 v[72:73], v[70:71], v[56:57]
	v_add_f64 v[54:55], v[62:63], -v[54:55]
	v_add_f64 v[62:63], v[72:73], -v[70:71]
	;; [unrolled: 1-line block ×5, first 2 shown]
	v_add_f64 v[56:57], v[56:57], v[62:63]
	v_add_f64 v[62:63], v[70:71], -v[66:67]
	v_add_f64 v[48:49], v[48:49], -v[62:63]
	v_add_f64 v[62:63], v[70:71], -v[62:63]
	v_add_f64 v[54:55], v[58:59], -v[54:55]
	v_add_f64 v[62:63], v[66:67], -v[62:63]
	v_add_f64 v[58:59], v[54:55], v[72:73]
	v_add_f64 v[48:49], v[48:49], v[62:63]
	v_add_f64 v[54:55], v[58:59], -v[54:55]
	v_add_f64 v[48:49], v[48:49], v[56:57]
	v_fma_f64 v[46:47], v[26:27], v[46:47], -v[66:67]
	v_add_f64 v[54:55], v[72:73], -v[54:55]
	v_add_f64 v[46:47], v[46:47], v[48:49]
	v_ldexp_f64 v[48:49], v[64:65], 2
	v_add_f64 v[46:47], v[54:55], v[46:47]
	v_add_f64 v[54:55], v[58:59], v[48:49]
	v_mov_b32_e32 v56, 0x40100000
	v_cmp_gt_f64_e32 vcc, 0, v[54:55]
	v_mov_b32_e32 v68, 0
	v_cndmask_b32_e32 v69, 0, v56, vcc
	v_add_f64 v[48:49], v[48:49], v[68:69]
	v_add_f64 v[54:55], v[58:59], v[48:49]
	v_cvt_i32_f64_e32 v56, v[54:55]
	v_cvt_f64_i32_e32 v[54:55], v56
	v_add_f64 v[48:49], v[48:49], -v[54:55]
	v_add_f64 v[54:55], v[58:59], v[48:49]
	v_add_f64 v[48:49], v[54:55], -v[48:49]
	v_add_f64 v[48:49], v[58:59], -v[48:49]
	v_add_f64 v[46:47], v[46:47], v[48:49]
	v_cmp_le_f64_e32 vcc, 0.5, v[54:55]
	v_mov_b32_e32 v48, 0x3ff00000
	v_cndmask_b32_e32 v69, 0, v48, vcc
	v_addc_co_u32_e64 v86, s[8:9], 0, v56, vcc
	v_add_f64 v[48:49], v[54:55], -v[68:69]
	v_add_f64 v[54:55], v[48:49], v[46:47]
	s_mov_b32 s8, 0x54442d18
	v_add_f64 v[48:49], v[54:55], -v[48:49]
	s_mov_b32 s9, 0x3ff921fb
	v_add_f64 v[46:47], v[46:47], -v[48:49]
	v_mul_f64 v[48:49], v[54:55], s[8:9]
	s_mov_b32 s18, 0x33145c07
	v_fma_f64 v[56:57], v[54:55], s[8:9], -v[48:49]
	s_mov_b32 s19, 0x3c91a626
	v_fmac_f64_e32 v[56:57], s[18:19], v[54:55]
	v_fmac_f64_e32 v[56:57], s[8:9], v[46:47]
	v_add_f64 v[46:47], v[48:49], v[56:57]
	v_add_f64 v[48:49], v[46:47], -v[48:49]
	v_add_f64 v[48:49], v[56:57], -v[48:49]
	s_andn2_saveexec_b64 s[8:9], s[16:17]
	s_cbranch_execz .LBB0_44
	s_branch .LBB0_43
.LBB0_42:
	s_andn2_saveexec_b64 s[8:9], s[16:17]
	s_cbranch_execz .LBB0_44
.LBB0_43:
	s_mov_b32 s16, 0x6dc9c883
	s_mov_b32 s17, 0x3fe45f30
	v_mul_f64 v[46:47], |v[4:5]|, s[16:17]
	s_mov_b32 s16, 0x54442d18
	v_rndne_f64_e32 v[54:55], v[46:47]
	s_mov_b32 s17, 0xbff921fb
	v_fma_f64 v[46:47], v[54:55], s[16:17], |v[4:5]|
	s_mov_b32 s17, 0xbc91a626
	s_mov_b32 s16, 0x33145c00
	v_mul_f64 v[56:57], v[54:55], s[16:17]
	v_add_f64 v[62:63], v[46:47], v[56:57]
	v_fma_f64 v[48:49], s[16:17], v[54:55], v[46:47]
	s_mov_b32 s17, 0x3c91a626
	v_add_f64 v[46:47], v[46:47], -v[62:63]
	v_fma_f64 v[58:59], s[16:17], v[54:55], v[56:57]
	v_add_f64 v[46:47], v[46:47], v[56:57]
	v_add_f64 v[56:57], v[62:63], -v[48:49]
	v_add_f64 v[46:47], v[56:57], v[46:47]
	s_mov_b32 s16, 0x252049c0
	v_add_f64 v[56:57], v[46:47], -v[58:59]
	s_mov_b32 s17, 0xb97b839a
	v_fmac_f64_e32 v[56:57], s[16:17], v[54:55]
	v_add_f64 v[46:47], v[48:49], v[56:57]
	v_add_f64 v[48:49], v[46:47], -v[48:49]
	v_add_f64 v[48:49], v[56:57], -v[48:49]
	v_cvt_i32_f64_e32 v86, v[54:55]
.LBB0_44:
	s_or_b64 exec, exec, s[8:9]
                                        ; implicit-def: $vgpr87
                                        ; implicit-def: $vgpr54_vgpr55
                                        ; implicit-def: $vgpr56_vgpr57
	s_and_saveexec_b64 s[8:9], s[14:15]
	s_xor_b64 s[16:17], exec, s[8:9]
	s_cbranch_execz .LBB0_48
; %bb.45:
	s_mov_b32 s8, 0
	s_mov_b32 s9, 0x7b000000
	s_movk_i32 s18, 0xff80
	v_and_b32_e32 v56, 0x7fffffff, v5
	v_ldexp_f64 v[54:55], |v[4:5]|, s18
	v_cmp_ge_f64_e64 vcc, |v[4:5]|, s[8:9]
	v_cndmask_b32_e32 v55, v56, v55, vcc
	v_cndmask_b32_e32 v54, v4, v54, vcc
	v_mul_f64 v[58:59], v[34:35], v[54:55]
	v_mul_f64 v[56:57], v[32:33], v[54:55]
	v_fma_f64 v[62:63], v[34:35], v[54:55], -v[58:59]
	v_add_f64 v[64:65], v[56:57], v[62:63]
	v_add_f64 v[66:67], v[58:59], v[64:65]
	s_mov_b32 s8, 0
	v_ldexp_f64 v[68:69], v[66:67], -2
	s_mov_b32 s9, 0x7ff00000
	v_fract_f64_e32 v[70:71], v[68:69]
	v_cmp_neq_f64_e64 vcc, |v[68:69]|, s[8:9]
	v_cndmask_b32_e32 v69, 0, v71, vcc
	v_cndmask_b32_e32 v68, 0, v70, vcc
	v_add_f64 v[70:71], v[64:65], -v[56:57]
	v_add_f64 v[62:63], v[62:63], -v[70:71]
	;; [unrolled: 1-line block ×4, first 2 shown]
	v_add_f64 v[62:63], v[62:63], v[70:71]
	v_fma_f64 v[56:57], v[32:33], v[54:55], -v[56:57]
	v_mul_f64 v[70:71], v[26:27], v[54:55]
	v_add_f64 v[74:75], v[70:71], v[56:57]
	v_add_f64 v[76:77], v[74:75], v[62:63]
	v_add_f64 v[58:59], v[66:67], -v[58:59]
	v_add_f64 v[66:67], v[76:77], -v[74:75]
	;; [unrolled: 1-line block ×5, first 2 shown]
	v_add_f64 v[62:63], v[62:63], v[66:67]
	v_add_f64 v[66:67], v[74:75], -v[70:71]
	v_add_f64 v[56:57], v[56:57], -v[66:67]
	;; [unrolled: 1-line block ×5, first 2 shown]
	v_add_f64 v[64:65], v[58:59], v[76:77]
	v_add_f64 v[56:57], v[56:57], v[66:67]
	v_add_f64 v[58:59], v[64:65], -v[58:59]
	v_add_f64 v[56:57], v[56:57], v[62:63]
	v_fma_f64 v[54:55], v[26:27], v[54:55], -v[70:71]
	v_add_f64 v[58:59], v[76:77], -v[58:59]
	v_add_f64 v[54:55], v[54:55], v[56:57]
	v_ldexp_f64 v[56:57], v[68:69], 2
	v_add_f64 v[54:55], v[58:59], v[54:55]
	v_add_f64 v[58:59], v[64:65], v[56:57]
	v_mov_b32_e32 v62, 0x40100000
	v_cmp_gt_f64_e32 vcc, 0, v[58:59]
	v_mov_b32_e32 v72, 0
	v_cndmask_b32_e32 v73, 0, v62, vcc
	v_add_f64 v[56:57], v[56:57], v[72:73]
	v_add_f64 v[58:59], v[64:65], v[56:57]
	v_cvt_i32_f64_e32 v62, v[58:59]
	v_cvt_f64_i32_e32 v[58:59], v62
	v_add_f64 v[56:57], v[56:57], -v[58:59]
	v_add_f64 v[58:59], v[64:65], v[56:57]
	v_add_f64 v[56:57], v[58:59], -v[56:57]
	v_add_f64 v[56:57], v[64:65], -v[56:57]
	v_add_f64 v[54:55], v[54:55], v[56:57]
	v_cmp_le_f64_e32 vcc, 0.5, v[58:59]
	v_mov_b32_e32 v56, 0x3ff00000
	v_cndmask_b32_e32 v73, 0, v56, vcc
	v_addc_co_u32_e64 v87, s[8:9], 0, v62, vcc
	v_add_f64 v[56:57], v[58:59], -v[72:73]
	v_add_f64 v[58:59], v[56:57], v[54:55]
	s_mov_b32 s8, 0x54442d18
	v_add_f64 v[56:57], v[58:59], -v[56:57]
	s_mov_b32 s9, 0x3ff921fb
	v_add_f64 v[54:55], v[54:55], -v[56:57]
	v_mul_f64 v[56:57], v[58:59], s[8:9]
	s_mov_b32 s18, 0x33145c07
	v_fma_f64 v[62:63], v[58:59], s[8:9], -v[56:57]
	s_mov_b32 s19, 0x3c91a626
	v_fmac_f64_e32 v[62:63], s[18:19], v[58:59]
	v_fmac_f64_e32 v[62:63], s[8:9], v[54:55]
	v_add_f64 v[54:55], v[56:57], v[62:63]
	v_add_f64 v[56:57], v[54:55], -v[56:57]
	v_add_f64 v[56:57], v[62:63], -v[56:57]
	s_andn2_saveexec_b64 s[8:9], s[16:17]
	s_cbranch_execnz .LBB0_49
.LBB0_46:
	s_or_b64 exec, exec, s[8:9]
	s_and_b64 vcc, exec, s[10:11]
	s_cbranch_vccz .LBB0_50
.LBB0_47:
	s_mov_b32 s8, 0
	s_mov_b32 s9, 0x7b000000
	s_movk_i32 s16, 0xff80
	v_and_b32_e32 v62, 0x7fffffff, v9
	v_ldexp_f64 v[58:59], |v[8:9]|, s16
	v_cmp_ge_f64_e64 vcc, |v[8:9]|, s[8:9]
	v_cndmask_b32_e32 v59, v62, v59, vcc
	v_cndmask_b32_e32 v58, v8, v58, vcc
	v_mul_f64 v[64:65], v[12:13], v[58:59]
	v_mul_f64 v[62:63], v[10:11], v[58:59]
	v_fma_f64 v[66:67], v[12:13], v[58:59], -v[64:65]
	v_add_f64 v[68:69], v[62:63], v[66:67]
	v_add_f64 v[70:71], v[64:65], v[68:69]
	s_mov_b32 s8, 0
	v_ldexp_f64 v[72:73], v[70:71], -2
	s_mov_b32 s9, 0x7ff00000
	v_fract_f64_e32 v[74:75], v[72:73]
	v_cmp_neq_f64_e64 vcc, |v[72:73]|, s[8:9]
	v_cndmask_b32_e32 v73, 0, v75, vcc
	v_cndmask_b32_e32 v72, 0, v74, vcc
	v_add_f64 v[74:75], v[68:69], -v[62:63]
	v_add_f64 v[66:67], v[66:67], -v[74:75]
	;; [unrolled: 1-line block ×4, first 2 shown]
	v_add_f64 v[66:67], v[66:67], v[74:75]
	v_fma_f64 v[62:63], v[10:11], v[58:59], -v[62:63]
	v_mul_f64 v[74:75], v[6:7], v[58:59]
	v_add_f64 v[76:77], v[74:75], v[62:63]
	v_add_f64 v[88:89], v[76:77], v[66:67]
	v_add_f64 v[64:65], v[70:71], -v[64:65]
	v_add_f64 v[70:71], v[88:89], -v[76:77]
	;; [unrolled: 1-line block ×5, first 2 shown]
	v_add_f64 v[66:67], v[66:67], v[70:71]
	v_add_f64 v[70:71], v[76:77], -v[74:75]
	v_add_f64 v[62:63], v[62:63], -v[70:71]
	v_add_f64 v[70:71], v[76:77], -v[70:71]
	v_add_f64 v[64:65], v[68:69], -v[64:65]
	v_add_f64 v[70:71], v[74:75], -v[70:71]
	v_add_f64 v[68:69], v[64:65], v[88:89]
	v_add_f64 v[62:63], v[62:63], v[70:71]
	v_add_f64 v[64:65], v[68:69], -v[64:65]
	v_add_f64 v[62:63], v[62:63], v[66:67]
	v_fma_f64 v[58:59], v[6:7], v[58:59], -v[74:75]
	v_add_f64 v[64:65], v[88:89], -v[64:65]
	v_add_f64 v[58:59], v[58:59], v[62:63]
	v_ldexp_f64 v[62:63], v[72:73], 2
	v_add_f64 v[58:59], v[64:65], v[58:59]
	v_add_f64 v[64:65], v[68:69], v[62:63]
	v_cmp_gt_f64_e32 vcc, 0, v[64:65]
	s_and_b64 s[8:9], vcc, exec
	s_mov_b32 s18, 0
	s_cselect_b32 s19, 0x40100000, 0
	v_add_f64 v[62:63], v[62:63], s[18:19]
	v_add_f64 v[64:65], v[68:69], v[62:63]
	v_cvt_i32_f64_e32 v66, v[64:65]
	v_cvt_f64_i32_e32 v[64:65], v66
	v_add_f64 v[62:63], v[62:63], -v[64:65]
	v_add_f64 v[64:65], v[68:69], v[62:63]
	v_cmp_le_f64_e32 vcc, 0.5, v[64:65]
	v_add_f64 v[62:63], v[64:65], -v[62:63]
	s_and_b64 s[8:9], vcc, exec
	v_add_f64 v[62:63], v[68:69], -v[62:63]
	s_cselect_b32 s19, 0x3ff00000, 0
	v_add_f64 v[58:59], v[58:59], v[62:63]
	v_addc_co_u32_e64 v88, s[8:9], 0, v66, vcc
	v_add_f64 v[62:63], v[64:65], -s[18:19]
	v_add_f64 v[64:65], v[62:63], v[58:59]
	s_mov_b32 s8, 0x54442d18
	v_add_f64 v[62:63], v[64:65], -v[62:63]
	s_mov_b32 s9, 0x3ff921fb
	v_add_f64 v[58:59], v[58:59], -v[62:63]
	v_mul_f64 v[62:63], v[64:65], s[8:9]
	s_mov_b32 s18, 0x33145c07
	v_fma_f64 v[66:67], v[64:65], s[8:9], -v[62:63]
	s_mov_b32 s19, 0x3c91a626
	v_fmac_f64_e32 v[66:67], s[18:19], v[64:65]
	v_fmac_f64_e32 v[66:67], s[8:9], v[58:59]
	v_add_f64 v[58:59], v[62:63], v[66:67]
	v_add_f64 v[62:63], v[58:59], -v[62:63]
	v_add_f64 v[62:63], v[66:67], -v[62:63]
	s_cbranch_execz .LBB0_51
	s_branch .LBB0_52
.LBB0_48:
	s_andn2_saveexec_b64 s[8:9], s[16:17]
	s_cbranch_execz .LBB0_46
.LBB0_49:
	s_mov_b32 s16, 0x6dc9c883
	s_mov_b32 s17, 0x3fe45f30
	v_mul_f64 v[54:55], |v[4:5]|, s[16:17]
	s_mov_b32 s16, 0x54442d18
	v_rndne_f64_e32 v[58:59], v[54:55]
	s_mov_b32 s17, 0xbff921fb
	v_fma_f64 v[54:55], v[58:59], s[16:17], |v[4:5]|
	s_mov_b32 s17, 0xbc91a626
	s_mov_b32 s16, 0x33145c00
	v_mul_f64 v[62:63], v[58:59], s[16:17]
	v_add_f64 v[66:67], v[54:55], v[62:63]
	v_fma_f64 v[56:57], s[16:17], v[58:59], v[54:55]
	s_mov_b32 s17, 0x3c91a626
	v_add_f64 v[54:55], v[54:55], -v[66:67]
	v_fma_f64 v[64:65], s[16:17], v[58:59], v[62:63]
	v_add_f64 v[54:55], v[54:55], v[62:63]
	v_add_f64 v[62:63], v[66:67], -v[56:57]
	v_add_f64 v[54:55], v[62:63], v[54:55]
	s_mov_b32 s16, 0x252049c0
	v_add_f64 v[62:63], v[54:55], -v[64:65]
	s_mov_b32 s17, 0xb97b839a
	v_fmac_f64_e32 v[62:63], s[16:17], v[58:59]
	v_add_f64 v[54:55], v[56:57], v[62:63]
	v_add_f64 v[56:57], v[54:55], -v[56:57]
	v_add_f64 v[56:57], v[62:63], -v[56:57]
	v_cvt_i32_f64_e32 v87, v[58:59]
	s_or_b64 exec, exec, s[8:9]
	s_and_b64 vcc, exec, s[10:11]
	s_cbranch_vccnz .LBB0_47
.LBB0_50:
                                        ; implicit-def: $vgpr88
                                        ; implicit-def: $vgpr58_vgpr59
                                        ; implicit-def: $vgpr62_vgpr63
.LBB0_51:
	s_mov_b32 s8, 0x6dc9c883
	s_mov_b32 s9, 0x3fe45f30
	v_mul_f64 v[58:59], |v[8:9]|, s[8:9]
	s_mov_b32 s8, 0x54442d18
	v_rndne_f64_e32 v[64:65], v[58:59]
	s_mov_b32 s9, 0xbff921fb
	v_fma_f64 v[58:59], v[64:65], s[8:9], |v[8:9]|
	s_mov_b32 s9, 0xbc91a626
	s_mov_b32 s8, 0x33145c00
	v_mul_f64 v[66:67], v[64:65], s[8:9]
	v_add_f64 v[70:71], v[58:59], v[66:67]
	v_fma_f64 v[62:63], s[8:9], v[64:65], v[58:59]
	s_mov_b32 s9, 0x3c91a626
	v_add_f64 v[58:59], v[58:59], -v[70:71]
	v_fma_f64 v[68:69], s[8:9], v[64:65], v[66:67]
	v_add_f64 v[58:59], v[58:59], v[66:67]
	v_add_f64 v[66:67], v[70:71], -v[62:63]
	v_add_f64 v[58:59], v[66:67], v[58:59]
	s_mov_b32 s8, 0x252049c0
	v_add_f64 v[66:67], v[58:59], -v[68:69]
	s_mov_b32 s9, 0xb97b839a
	v_fmac_f64_e32 v[66:67], s[8:9], v[64:65]
	v_add_f64 v[58:59], v[62:63], v[66:67]
	v_add_f64 v[62:63], v[58:59], -v[62:63]
	v_add_f64 v[62:63], v[66:67], -v[62:63]
	v_cvt_i32_f64_e32 v88, v[64:65]
.LBB0_52:
                                        ; implicit-def: $vgpr89
                                        ; implicit-def: $vgpr64_vgpr65
                                        ; implicit-def: $vgpr66_vgpr67
	s_and_saveexec_b64 s[8:9], s[14:15]
	s_xor_b64 s[16:17], exec, s[8:9]
	s_cbranch_execz .LBB0_54
; %bb.53:
	s_mov_b32 s8, 0
	s_mov_b32 s9, 0x7b000000
	s_movk_i32 s18, 0xff80
	v_and_b32_e32 v66, 0x7fffffff, v5
	v_ldexp_f64 v[64:65], |v[4:5]|, s18
	v_cmp_ge_f64_e64 vcc, |v[4:5]|, s[8:9]
	v_cndmask_b32_e32 v65, v66, v65, vcc
	v_cndmask_b32_e32 v64, v4, v64, vcc
	v_mul_f64 v[68:69], v[34:35], v[64:65]
	v_mul_f64 v[66:67], v[32:33], v[64:65]
	v_fma_f64 v[70:71], v[34:35], v[64:65], -v[68:69]
	v_add_f64 v[72:73], v[66:67], v[70:71]
	v_add_f64 v[74:75], v[68:69], v[72:73]
	s_mov_b32 s8, 0
	v_ldexp_f64 v[76:77], v[74:75], -2
	s_mov_b32 s9, 0x7ff00000
	v_fract_f64_e32 v[90:91], v[76:77]
	v_cmp_neq_f64_e64 vcc, |v[76:77]|, s[8:9]
	v_cndmask_b32_e32 v77, 0, v91, vcc
	v_cndmask_b32_e32 v76, 0, v90, vcc
	v_add_f64 v[90:91], v[72:73], -v[66:67]
	v_add_f64 v[70:71], v[70:71], -v[90:91]
	;; [unrolled: 1-line block ×4, first 2 shown]
	v_add_f64 v[70:71], v[70:71], v[90:91]
	v_fma_f64 v[66:67], v[32:33], v[64:65], -v[66:67]
	v_mul_f64 v[90:91], v[26:27], v[64:65]
	v_add_f64 v[94:95], v[90:91], v[66:67]
	v_add_f64 v[96:97], v[94:95], v[70:71]
	v_add_f64 v[68:69], v[74:75], -v[68:69]
	v_add_f64 v[74:75], v[96:97], -v[94:95]
	;; [unrolled: 1-line block ×5, first 2 shown]
	v_add_f64 v[70:71], v[70:71], v[74:75]
	v_add_f64 v[74:75], v[94:95], -v[90:91]
	v_add_f64 v[66:67], v[66:67], -v[74:75]
	;; [unrolled: 1-line block ×5, first 2 shown]
	v_add_f64 v[72:73], v[68:69], v[96:97]
	v_add_f64 v[66:67], v[66:67], v[74:75]
	v_add_f64 v[68:69], v[72:73], -v[68:69]
	v_add_f64 v[66:67], v[66:67], v[70:71]
	v_fma_f64 v[64:65], v[26:27], v[64:65], -v[90:91]
	v_add_f64 v[68:69], v[96:97], -v[68:69]
	v_add_f64 v[64:65], v[64:65], v[66:67]
	v_ldexp_f64 v[66:67], v[76:77], 2
	v_add_f64 v[64:65], v[68:69], v[64:65]
	v_add_f64 v[68:69], v[72:73], v[66:67]
	v_mov_b32_e32 v70, 0x40100000
	v_cmp_gt_f64_e32 vcc, 0, v[68:69]
	v_mov_b32_e32 v92, 0
	v_cndmask_b32_e32 v93, 0, v70, vcc
	v_add_f64 v[66:67], v[66:67], v[92:93]
	v_add_f64 v[68:69], v[72:73], v[66:67]
	v_cvt_i32_f64_e32 v70, v[68:69]
	v_cvt_f64_i32_e32 v[68:69], v70
	v_add_f64 v[66:67], v[66:67], -v[68:69]
	v_add_f64 v[68:69], v[72:73], v[66:67]
	v_add_f64 v[66:67], v[68:69], -v[66:67]
	v_add_f64 v[66:67], v[72:73], -v[66:67]
	v_add_f64 v[64:65], v[64:65], v[66:67]
	v_cmp_le_f64_e32 vcc, 0.5, v[68:69]
	v_mov_b32_e32 v66, 0x3ff00000
	v_cndmask_b32_e32 v93, 0, v66, vcc
	v_addc_co_u32_e64 v89, s[8:9], 0, v70, vcc
	v_add_f64 v[66:67], v[68:69], -v[92:93]
	v_add_f64 v[68:69], v[66:67], v[64:65]
	s_mov_b32 s8, 0x54442d18
	v_add_f64 v[66:67], v[68:69], -v[66:67]
	s_mov_b32 s9, 0x3ff921fb
	v_add_f64 v[64:65], v[64:65], -v[66:67]
	v_mul_f64 v[66:67], v[68:69], s[8:9]
	s_mov_b32 s18, 0x33145c07
	v_fma_f64 v[70:71], v[68:69], s[8:9], -v[66:67]
	s_mov_b32 s19, 0x3c91a626
	v_fmac_f64_e32 v[70:71], s[18:19], v[68:69]
	v_fmac_f64_e32 v[70:71], s[8:9], v[64:65]
	v_add_f64 v[64:65], v[66:67], v[70:71]
	v_add_f64 v[66:67], v[64:65], -v[66:67]
	v_add_f64 v[66:67], v[70:71], -v[66:67]
	s_andn2_saveexec_b64 s[8:9], s[16:17]
	s_cbranch_execz .LBB0_56
	s_branch .LBB0_55
.LBB0_54:
	s_andn2_saveexec_b64 s[8:9], s[16:17]
	s_cbranch_execz .LBB0_56
.LBB0_55:
	s_mov_b32 s16, 0x6dc9c883
	s_mov_b32 s17, 0x3fe45f30
	v_mul_f64 v[64:65], |v[4:5]|, s[16:17]
	s_mov_b32 s16, 0x54442d18
	v_rndne_f64_e32 v[68:69], v[64:65]
	s_mov_b32 s17, 0xbff921fb
	v_fma_f64 v[64:65], v[68:69], s[16:17], |v[4:5]|
	s_mov_b32 s17, 0xbc91a626
	s_mov_b32 s16, 0x33145c00
	v_mul_f64 v[70:71], v[68:69], s[16:17]
	v_add_f64 v[74:75], v[64:65], v[70:71]
	v_fma_f64 v[66:67], s[16:17], v[68:69], v[64:65]
	s_mov_b32 s17, 0x3c91a626
	v_add_f64 v[64:65], v[64:65], -v[74:75]
	v_fma_f64 v[72:73], s[16:17], v[68:69], v[70:71]
	v_add_f64 v[64:65], v[64:65], v[70:71]
	v_add_f64 v[70:71], v[74:75], -v[66:67]
	v_add_f64 v[64:65], v[70:71], v[64:65]
	s_mov_b32 s16, 0x252049c0
	v_add_f64 v[70:71], v[64:65], -v[72:73]
	s_mov_b32 s17, 0xb97b839a
	v_fmac_f64_e32 v[70:71], s[16:17], v[68:69]
	v_add_f64 v[64:65], v[66:67], v[70:71]
	v_add_f64 v[66:67], v[64:65], -v[66:67]
	v_add_f64 v[66:67], v[70:71], -v[66:67]
	v_cvt_i32_f64_e32 v89, v[68:69]
.LBB0_56:
	s_or_b64 exec, exec, s[8:9]
                                        ; implicit-def: $vgpr90
                                        ; implicit-def: $vgpr68_vgpr69
                                        ; implicit-def: $vgpr70_vgpr71
	s_and_saveexec_b64 s[8:9], s[14:15]
	s_xor_b64 s[16:17], exec, s[8:9]
	s_cbranch_execz .LBB0_60
; %bb.57:
	s_mov_b32 s8, 0
	s_mov_b32 s9, 0x7b000000
	s_movk_i32 s18, 0xff80
	v_and_b32_e32 v70, 0x7fffffff, v5
	v_ldexp_f64 v[68:69], |v[4:5]|, s18
	v_cmp_ge_f64_e64 vcc, |v[4:5]|, s[8:9]
	v_cndmask_b32_e32 v69, v70, v69, vcc
	v_cndmask_b32_e32 v68, v4, v68, vcc
	v_mul_f64 v[72:73], v[34:35], v[68:69]
	v_mul_f64 v[70:71], v[32:33], v[68:69]
	v_fma_f64 v[74:75], v[34:35], v[68:69], -v[72:73]
	v_add_f64 v[76:77], v[70:71], v[74:75]
	v_add_f64 v[90:91], v[72:73], v[76:77]
	s_mov_b32 s8, 0
	v_ldexp_f64 v[92:93], v[90:91], -2
	s_mov_b32 s9, 0x7ff00000
	v_fract_f64_e32 v[94:95], v[92:93]
	v_cmp_neq_f64_e64 vcc, |v[92:93]|, s[8:9]
	v_cndmask_b32_e32 v93, 0, v95, vcc
	v_cndmask_b32_e32 v92, 0, v94, vcc
	v_add_f64 v[94:95], v[76:77], -v[70:71]
	v_add_f64 v[74:75], v[74:75], -v[94:95]
	;; [unrolled: 1-line block ×4, first 2 shown]
	v_add_f64 v[74:75], v[74:75], v[94:95]
	v_fma_f64 v[70:71], v[32:33], v[68:69], -v[70:71]
	v_mul_f64 v[94:95], v[26:27], v[68:69]
	v_add_f64 v[98:99], v[94:95], v[70:71]
	v_add_f64 v[100:101], v[98:99], v[74:75]
	v_add_f64 v[72:73], v[90:91], -v[72:73]
	v_add_f64 v[90:91], v[100:101], -v[98:99]
	;; [unrolled: 1-line block ×5, first 2 shown]
	v_add_f64 v[74:75], v[74:75], v[90:91]
	v_add_f64 v[90:91], v[98:99], -v[94:95]
	v_add_f64 v[70:71], v[70:71], -v[90:91]
	;; [unrolled: 1-line block ×5, first 2 shown]
	v_add_f64 v[76:77], v[72:73], v[100:101]
	v_add_f64 v[70:71], v[70:71], v[90:91]
	v_add_f64 v[72:73], v[76:77], -v[72:73]
	v_add_f64 v[70:71], v[70:71], v[74:75]
	v_fma_f64 v[68:69], v[26:27], v[68:69], -v[94:95]
	v_add_f64 v[72:73], v[100:101], -v[72:73]
	v_add_f64 v[68:69], v[68:69], v[70:71]
	v_ldexp_f64 v[70:71], v[92:93], 2
	v_add_f64 v[68:69], v[72:73], v[68:69]
	v_add_f64 v[72:73], v[76:77], v[70:71]
	v_mov_b32_e32 v74, 0x40100000
	v_cmp_gt_f64_e32 vcc, 0, v[72:73]
	v_mov_b32_e32 v96, 0
	v_cndmask_b32_e32 v97, 0, v74, vcc
	v_add_f64 v[70:71], v[70:71], v[96:97]
	v_add_f64 v[72:73], v[76:77], v[70:71]
	v_cvt_i32_f64_e32 v74, v[72:73]
	v_cvt_f64_i32_e32 v[72:73], v74
	v_add_f64 v[70:71], v[70:71], -v[72:73]
	v_add_f64 v[72:73], v[76:77], v[70:71]
	v_add_f64 v[70:71], v[72:73], -v[70:71]
	v_add_f64 v[70:71], v[76:77], -v[70:71]
	v_add_f64 v[68:69], v[68:69], v[70:71]
	v_cmp_le_f64_e32 vcc, 0.5, v[72:73]
	v_mov_b32_e32 v70, 0x3ff00000
	v_cndmask_b32_e32 v97, 0, v70, vcc
	v_addc_co_u32_e64 v90, s[8:9], 0, v74, vcc
	v_add_f64 v[70:71], v[72:73], -v[96:97]
	v_add_f64 v[72:73], v[70:71], v[68:69]
	s_mov_b32 s8, 0x54442d18
	v_add_f64 v[70:71], v[72:73], -v[70:71]
	s_mov_b32 s9, 0x3ff921fb
	v_add_f64 v[68:69], v[68:69], -v[70:71]
	v_mul_f64 v[70:71], v[72:73], s[8:9]
	s_mov_b32 s18, 0x33145c07
	v_fma_f64 v[74:75], v[72:73], s[8:9], -v[70:71]
	s_mov_b32 s19, 0x3c91a626
	v_fmac_f64_e32 v[74:75], s[18:19], v[72:73]
	v_fmac_f64_e32 v[74:75], s[8:9], v[68:69]
	v_add_f64 v[68:69], v[70:71], v[74:75]
	v_add_f64 v[70:71], v[68:69], -v[70:71]
	v_add_f64 v[70:71], v[74:75], -v[70:71]
	s_andn2_saveexec_b64 s[8:9], s[16:17]
	s_cbranch_execnz .LBB0_61
.LBB0_58:
	s_or_b64 exec, exec, s[8:9]
	s_and_b64 vcc, exec, s[10:11]
	s_cbranch_vccz .LBB0_62
.LBB0_59:
	s_mov_b32 s8, 0
	s_mov_b32 s9, 0x7b000000
	s_movk_i32 s10, 0xff80
	v_and_b32_e32 v74, 0x7fffffff, v9
	v_ldexp_f64 v[72:73], |v[8:9]|, s10
	v_cmp_ge_f64_e64 vcc, |v[8:9]|, s[8:9]
	v_cndmask_b32_e32 v73, v74, v73, vcc
	v_cndmask_b32_e32 v72, v8, v72, vcc
	v_mul_f64 v[76:77], v[12:13], v[72:73]
	v_mul_f64 v[74:75], v[10:11], v[72:73]
	v_fma_f64 v[12:13], v[12:13], v[72:73], -v[76:77]
	v_add_f64 v[92:93], v[74:75], v[12:13]
	v_add_f64 v[94:95], v[76:77], v[92:93]
	s_mov_b32 s8, 0
	v_ldexp_f64 v[96:97], v[94:95], -2
	s_mov_b32 s9, 0x7ff00000
	v_fract_f64_e32 v[98:99], v[96:97]
	v_cmp_neq_f64_e64 vcc, |v[96:97]|, s[8:9]
	v_cndmask_b32_e32 v97, 0, v99, vcc
	v_cndmask_b32_e32 v96, 0, v98, vcc
	v_add_f64 v[98:99], v[92:93], -v[74:75]
	v_add_f64 v[12:13], v[12:13], -v[98:99]
	;; [unrolled: 1-line block ×4, first 2 shown]
	v_fma_f64 v[10:11], v[10:11], v[72:73], -v[74:75]
	v_mul_f64 v[74:75], v[6:7], v[72:73]
	v_add_f64 v[12:13], v[12:13], v[98:99]
	v_add_f64 v[98:99], v[74:75], v[10:11]
	;; [unrolled: 1-line block ×3, first 2 shown]
	v_add_f64 v[76:77], v[94:95], -v[76:77]
	v_add_f64 v[94:95], v[100:101], -v[98:99]
	;; [unrolled: 1-line block ×5, first 2 shown]
	v_add_f64 v[12:13], v[12:13], v[94:95]
	v_add_f64 v[94:95], v[98:99], -v[74:75]
	v_add_f64 v[10:11], v[10:11], -v[94:95]
	;; [unrolled: 1-line block ×4, first 2 shown]
	v_add_f64 v[10:11], v[10:11], v[94:95]
	v_add_f64 v[76:77], v[92:93], -v[76:77]
	v_add_f64 v[10:11], v[10:11], v[12:13]
	v_fma_f64 v[6:7], v[6:7], v[72:73], -v[74:75]
	v_add_f64 v[92:93], v[76:77], v[100:101]
	v_add_f64 v[6:7], v[6:7], v[10:11]
	v_ldexp_f64 v[10:11], v[96:97], 2
	v_add_f64 v[12:13], v[92:93], v[10:11]
	v_cmp_gt_f64_e32 vcc, 0, v[12:13]
	s_and_b64 s[8:9], vcc, exec
	s_mov_b32 s16, 0
	s_cselect_b32 s17, 0x40100000, 0
	v_add_f64 v[10:11], v[10:11], s[16:17]
	v_add_f64 v[12:13], v[92:93], v[10:11]
	v_cvt_i32_f64_e32 v72, v[12:13]
	v_cvt_f64_i32_e32 v[12:13], v72
	v_add_f64 v[10:11], v[10:11], -v[12:13]
	v_add_f64 v[12:13], v[92:93], v[10:11]
	v_add_f64 v[76:77], v[92:93], -v[76:77]
	v_cmp_le_f64_e32 vcc, 0.5, v[12:13]
	v_add_f64 v[76:77], v[100:101], -v[76:77]
	v_add_f64 v[10:11], v[12:13], -v[10:11]
	s_and_b64 s[8:9], vcc, exec
	v_add_f64 v[6:7], v[76:77], v[6:7]
	v_add_f64 v[10:11], v[92:93], -v[10:11]
	v_addc_co_u32_e64 v91, s[8:9], 0, v72, vcc
	s_cselect_b32 s17, 0x3ff00000, 0
	v_add_f64 v[6:7], v[6:7], v[10:11]
	v_add_f64 v[10:11], v[12:13], -s[16:17]
	s_mov_b32 s8, 0x54442d18
	v_add_f64 v[12:13], v[10:11], v[6:7]
	s_mov_b32 s9, 0x3ff921fb
	v_mul_f64 v[72:73], v[12:13], s[8:9]
	s_mov_b32 s16, 0x33145c07
	v_add_f64 v[10:11], v[12:13], -v[10:11]
	v_fma_f64 v[74:75], v[12:13], s[8:9], -v[72:73]
	s_mov_b32 s17, 0x3c91a626
	v_add_f64 v[6:7], v[6:7], -v[10:11]
	v_fmac_f64_e32 v[74:75], s[16:17], v[12:13]
	v_fmac_f64_e32 v[74:75], s[8:9], v[6:7]
	v_add_f64 v[10:11], v[72:73], v[74:75]
	v_add_f64 v[6:7], v[10:11], -v[72:73]
	v_add_f64 v[12:13], v[74:75], -v[6:7]
	s_cbranch_execz .LBB0_63
	s_branch .LBB0_64
.LBB0_60:
	s_andn2_saveexec_b64 s[8:9], s[16:17]
	s_cbranch_execz .LBB0_58
.LBB0_61:
	s_mov_b32 s16, 0x6dc9c883
	s_mov_b32 s17, 0x3fe45f30
	v_mul_f64 v[68:69], |v[4:5]|, s[16:17]
	s_mov_b32 s16, 0x54442d18
	v_rndne_f64_e32 v[72:73], v[68:69]
	s_mov_b32 s17, 0xbff921fb
	v_fma_f64 v[68:69], v[72:73], s[16:17], |v[4:5]|
	s_mov_b32 s17, 0xbc91a626
	s_mov_b32 s16, 0x33145c00
	v_mul_f64 v[74:75], v[72:73], s[16:17]
	v_add_f64 v[90:91], v[68:69], v[74:75]
	v_fma_f64 v[70:71], s[16:17], v[72:73], v[68:69]
	s_mov_b32 s17, 0x3c91a626
	v_add_f64 v[68:69], v[68:69], -v[90:91]
	v_fma_f64 v[76:77], s[16:17], v[72:73], v[74:75]
	v_add_f64 v[68:69], v[68:69], v[74:75]
	v_add_f64 v[74:75], v[90:91], -v[70:71]
	v_add_f64 v[68:69], v[74:75], v[68:69]
	s_mov_b32 s16, 0x252049c0
	v_add_f64 v[74:75], v[68:69], -v[76:77]
	s_mov_b32 s17, 0xb97b839a
	v_fmac_f64_e32 v[74:75], s[16:17], v[72:73]
	v_add_f64 v[68:69], v[70:71], v[74:75]
	v_add_f64 v[70:71], v[68:69], -v[70:71]
	v_add_f64 v[70:71], v[74:75], -v[70:71]
	v_cvt_i32_f64_e32 v90, v[72:73]
	s_or_b64 exec, exec, s[8:9]
	s_and_b64 vcc, exec, s[10:11]
	s_cbranch_vccnz .LBB0_59
.LBB0_62:
                                        ; implicit-def: $vgpr91
                                        ; implicit-def: $vgpr10_vgpr11
                                        ; implicit-def: $vgpr12_vgpr13
.LBB0_63:
	s_mov_b32 s8, 0x6dc9c883
	s_mov_b32 s9, 0x3fe45f30
	v_mul_f64 v[6:7], |v[8:9]|, s[8:9]
	s_mov_b32 s8, 0x54442d18
	v_rndne_f64_e32 v[6:7], v[6:7]
	s_mov_b32 s9, 0xbff921fb
	v_fma_f64 v[10:11], v[6:7], s[8:9], |v[8:9]|
	s_mov_b32 s9, 0xbc91a626
	s_mov_b32 s8, 0x33145c00
	v_mul_f64 v[72:73], v[6:7], s[8:9]
	v_add_f64 v[76:77], v[10:11], v[72:73]
	v_fma_f64 v[12:13], s[8:9], v[6:7], v[10:11]
	s_mov_b32 s9, 0x3c91a626
	v_add_f64 v[10:11], v[10:11], -v[76:77]
	v_fma_f64 v[74:75], s[8:9], v[6:7], v[72:73]
	v_add_f64 v[10:11], v[10:11], v[72:73]
	v_add_f64 v[72:73], v[76:77], -v[12:13]
	v_add_f64 v[10:11], v[72:73], v[10:11]
	s_mov_b32 s8, 0x252049c0
	v_add_f64 v[72:73], v[10:11], -v[74:75]
	s_mov_b32 s9, 0xb97b839a
	v_fmac_f64_e32 v[72:73], s[8:9], v[6:7]
	v_add_f64 v[10:11], v[12:13], v[72:73]
	v_add_f64 v[12:13], v[10:11], -v[12:13]
	v_add_f64 v[12:13], v[72:73], -v[12:13]
	v_cvt_i32_f64_e32 v91, v[6:7]
.LBB0_64:
                                        ; implicit-def: $vgpr92
                                        ; implicit-def: $vgpr72_vgpr73
                                        ; implicit-def: $vgpr74_vgpr75
	s_and_saveexec_b64 s[8:9], s[6:7]
	s_xor_b64 s[8:9], exec, s[8:9]
	s_cbranch_execz .LBB0_66
; %bb.65:
	s_mov_b32 s6, 0
	s_mov_b32 s7, 0x7b000000
	s_movk_i32 s10, 0xff80
	v_ldexp_f64 v[6:7], v[52:53], s10
	v_cmp_le_f64_e32 vcc, s[6:7], v[52:53]
	v_cndmask_b32_e32 v7, v53, v7, vcc
	v_cndmask_b32_e32 v6, v52, v6, vcc
	v_mul_f64 v[74:75], v[60:61], v[6:7]
	v_mul_f64 v[72:73], v[42:43], v[6:7]
	v_fma_f64 v[60:61], v[60:61], v[6:7], -v[74:75]
	v_add_f64 v[76:77], v[72:73], v[60:61]
	v_add_f64 v[92:93], v[74:75], v[76:77]
	s_mov_b32 s6, 0
	v_ldexp_f64 v[94:95], v[92:93], -2
	s_mov_b32 s7, 0x7ff00000
	v_fract_f64_e32 v[96:97], v[94:95]
	v_cmp_neq_f64_e64 vcc, |v[94:95]|, s[6:7]
	v_cndmask_b32_e32 v95, 0, v97, vcc
	v_cndmask_b32_e32 v94, 0, v96, vcc
	v_add_f64 v[96:97], v[76:77], -v[72:73]
	v_add_f64 v[60:61], v[60:61], -v[96:97]
	;; [unrolled: 1-line block ×4, first 2 shown]
	v_fma_f64 v[42:43], v[42:43], v[6:7], -v[72:73]
	v_mul_f64 v[72:73], v[38:39], v[6:7]
	v_add_f64 v[60:61], v[60:61], v[96:97]
	v_add_f64 v[96:97], v[72:73], v[42:43]
	;; [unrolled: 1-line block ×3, first 2 shown]
	v_add_f64 v[74:75], v[92:93], -v[74:75]
	v_add_f64 v[92:93], v[100:101], -v[96:97]
	;; [unrolled: 1-line block ×5, first 2 shown]
	v_add_f64 v[60:61], v[60:61], v[92:93]
	v_add_f64 v[92:93], v[96:97], -v[72:73]
	v_add_f64 v[42:43], v[42:43], -v[92:93]
	;; [unrolled: 1-line block ×5, first 2 shown]
	v_add_f64 v[42:43], v[42:43], v[92:93]
	v_add_f64 v[76:77], v[74:75], v[100:101]
	;; [unrolled: 1-line block ×3, first 2 shown]
	v_fma_f64 v[6:7], v[38:39], v[6:7], -v[72:73]
	v_ldexp_f64 v[38:39], v[94:95], 2
	v_add_f64 v[6:7], v[6:7], v[42:43]
	v_add_f64 v[42:43], v[76:77], v[38:39]
	v_mov_b32_e32 v8, 0x40100000
	v_cmp_gt_f64_e32 vcc, 0, v[42:43]
	v_mov_b32_e32 v98, 0
	v_cndmask_b32_e32 v99, 0, v8, vcc
	v_add_f64 v[38:39], v[38:39], v[98:99]
	v_add_f64 v[42:43], v[76:77], v[38:39]
	v_cvt_i32_f64_e32 v8, v[42:43]
	v_cvt_f64_i32_e32 v[42:43], v8
	v_add_f64 v[38:39], v[38:39], -v[42:43]
	v_add_f64 v[42:43], v[76:77], v[38:39]
	v_add_f64 v[74:75], v[76:77], -v[74:75]
	v_cmp_le_f64_e32 vcc, 0.5, v[42:43]
	v_add_f64 v[74:75], v[100:101], -v[74:75]
	v_add_f64 v[38:39], v[42:43], -v[38:39]
	v_addc_co_u32_e64 v92, s[6:7], 0, v8, vcc
	v_mov_b32_e32 v8, 0x3ff00000
	v_add_f64 v[6:7], v[74:75], v[6:7]
	v_add_f64 v[38:39], v[76:77], -v[38:39]
	v_cndmask_b32_e32 v99, 0, v8, vcc
	v_add_f64 v[6:7], v[6:7], v[38:39]
	v_add_f64 v[38:39], v[42:43], -v[98:99]
	v_add_f64 v[42:43], v[38:39], v[6:7]
	s_mov_b32 s6, 0x54442d18
	v_add_f64 v[38:39], v[42:43], -v[38:39]
	s_mov_b32 s7, 0x3ff921fb
	v_add_f64 v[6:7], v[6:7], -v[38:39]
	v_mul_f64 v[38:39], v[42:43], s[6:7]
	s_mov_b32 s10, 0x33145c07
	v_fma_f64 v[60:61], v[42:43], s[6:7], -v[38:39]
	s_mov_b32 s11, 0x3c91a626
	v_fmac_f64_e32 v[60:61], s[10:11], v[42:43]
	v_fmac_f64_e32 v[60:61], s[6:7], v[6:7]
	v_add_f64 v[72:73], v[38:39], v[60:61]
	v_add_f64 v[6:7], v[72:73], -v[38:39]
	v_add_f64 v[74:75], v[60:61], -v[6:7]
	s_andn2_saveexec_b64 s[6:7], s[8:9]
	s_cbranch_execz .LBB0_68
	s_branch .LBB0_67
.LBB0_66:
	s_andn2_saveexec_b64 s[6:7], s[8:9]
	s_cbranch_execz .LBB0_68
.LBB0_67:
	s_mov_b32 s8, 0x6dc9c883
	s_mov_b32 s9, 0x3fe45f30
	v_mul_f64 v[6:7], v[52:53], s[8:9]
	s_mov_b32 s8, 0x54442d18
	v_rndne_f64_e32 v[6:7], v[6:7]
	s_mov_b32 s9, 0xbff921fb
	v_fma_f64 v[38:39], s[8:9], v[6:7], v[52:53]
	s_mov_b32 s9, 0xbc91a626
	s_mov_b32 s8, 0x33145c00
	v_mul_f64 v[60:61], v[6:7], s[8:9]
	v_add_f64 v[74:75], v[38:39], v[60:61]
	v_fma_f64 v[42:43], s[8:9], v[6:7], v[38:39]
	s_mov_b32 s9, 0x3c91a626
	v_add_f64 v[38:39], v[38:39], -v[74:75]
	v_fma_f64 v[72:73], s[8:9], v[6:7], v[60:61]
	v_add_f64 v[38:39], v[38:39], v[60:61]
	v_add_f64 v[60:61], v[74:75], -v[42:43]
	v_add_f64 v[38:39], v[60:61], v[38:39]
	s_mov_b32 s8, 0x252049c0
	v_add_f64 v[38:39], v[38:39], -v[72:73]
	s_mov_b32 s9, 0xb97b839a
	v_fmac_f64_e32 v[38:39], s[8:9], v[6:7]
	v_add_f64 v[72:73], v[42:43], v[38:39]
	v_add_f64 v[42:43], v[72:73], -v[42:43]
	v_add_f64 v[74:75], v[38:39], -v[42:43]
	v_cvt_i32_f64_e32 v92, v[6:7]
.LBB0_68:
	s_or_b64 exec, exec, s[6:7]
                                        ; implicit-def: $vgpr93
                                        ; implicit-def: $vgpr60_vgpr61
                                        ; implicit-def: $vgpr76_vgpr77
	s_and_saveexec_b64 s[6:7], s[14:15]
	s_xor_b64 s[8:9], exec, s[6:7]
	s_cbranch_execz .LBB0_70
; %bb.69:
	s_mov_b32 s6, 0
	s_mov_b32 s7, 0x7b000000
	s_movk_i32 s10, 0xff80
	v_and_b32_e32 v8, 0x7fffffff, v5
	v_ldexp_f64 v[6:7], |v[4:5]|, s10
	v_cmp_ge_f64_e64 vcc, |v[4:5]|, s[6:7]
	v_cndmask_b32_e32 v7, v8, v7, vcc
	v_cndmask_b32_e32 v6, v4, v6, vcc
	v_mul_f64 v[42:43], v[34:35], v[6:7]
	v_mul_f64 v[38:39], v[32:33], v[6:7]
	v_fma_f64 v[60:61], v[34:35], v[6:7], -v[42:43]
	v_add_f64 v[76:77], v[38:39], v[60:61]
	v_add_f64 v[94:95], v[42:43], v[76:77]
	s_mov_b32 s6, 0
	v_ldexp_f64 v[96:97], v[94:95], -2
	s_mov_b32 s7, 0x7ff00000
	v_fract_f64_e32 v[98:99], v[96:97]
	v_cmp_neq_f64_e64 vcc, |v[96:97]|, s[6:7]
	v_cndmask_b32_e32 v97, 0, v99, vcc
	v_cndmask_b32_e32 v96, 0, v98, vcc
	v_add_f64 v[98:99], v[76:77], -v[38:39]
	v_add_f64 v[60:61], v[60:61], -v[98:99]
	;; [unrolled: 1-line block ×4, first 2 shown]
	v_add_f64 v[60:61], v[60:61], v[98:99]
	v_fma_f64 v[38:39], v[32:33], v[6:7], -v[38:39]
	v_mul_f64 v[98:99], v[26:27], v[6:7]
	v_add_f64 v[102:103], v[98:99], v[38:39]
	v_add_f64 v[104:105], v[102:103], v[60:61]
	v_add_f64 v[42:43], v[94:95], -v[42:43]
	v_add_f64 v[94:95], v[104:105], -v[102:103]
	v_add_f64 v[60:61], v[60:61], -v[94:95]
	v_add_f64 v[94:95], v[104:105], -v[94:95]
	v_add_f64 v[94:95], v[102:103], -v[94:95]
	v_add_f64 v[60:61], v[60:61], v[94:95]
	v_add_f64 v[94:95], v[102:103], -v[98:99]
	v_add_f64 v[38:39], v[38:39], -v[94:95]
	;; [unrolled: 1-line block ×5, first 2 shown]
	v_add_f64 v[76:77], v[42:43], v[104:105]
	v_add_f64 v[38:39], v[38:39], v[94:95]
	v_add_f64 v[42:43], v[76:77], -v[42:43]
	v_add_f64 v[38:39], v[38:39], v[60:61]
	v_fma_f64 v[6:7], v[26:27], v[6:7], -v[98:99]
	v_add_f64 v[42:43], v[104:105], -v[42:43]
	v_add_f64 v[6:7], v[6:7], v[38:39]
	v_ldexp_f64 v[38:39], v[96:97], 2
	v_add_f64 v[6:7], v[42:43], v[6:7]
	v_add_f64 v[42:43], v[76:77], v[38:39]
	v_mov_b32_e32 v8, 0x40100000
	v_cmp_gt_f64_e32 vcc, 0, v[42:43]
	v_mov_b32_e32 v100, 0
	v_cndmask_b32_e32 v101, 0, v8, vcc
	v_add_f64 v[38:39], v[38:39], v[100:101]
	v_add_f64 v[42:43], v[76:77], v[38:39]
	v_cvt_i32_f64_e32 v8, v[42:43]
	v_cvt_f64_i32_e32 v[42:43], v8
	v_add_f64 v[38:39], v[38:39], -v[42:43]
	v_add_f64 v[42:43], v[76:77], v[38:39]
	v_cmp_le_f64_e32 vcc, 0.5, v[42:43]
	v_add_f64 v[38:39], v[42:43], -v[38:39]
	v_addc_co_u32_e64 v93, s[6:7], 0, v8, vcc
	v_mov_b32_e32 v8, 0x3ff00000
	v_add_f64 v[38:39], v[76:77], -v[38:39]
	v_cndmask_b32_e32 v101, 0, v8, vcc
	v_add_f64 v[6:7], v[6:7], v[38:39]
	v_add_f64 v[38:39], v[42:43], -v[100:101]
	v_add_f64 v[42:43], v[38:39], v[6:7]
	s_mov_b32 s6, 0x54442d18
	v_add_f64 v[38:39], v[42:43], -v[38:39]
	s_mov_b32 s7, 0x3ff921fb
	v_add_f64 v[6:7], v[6:7], -v[38:39]
	v_mul_f64 v[38:39], v[42:43], s[6:7]
	s_mov_b32 s10, 0x33145c07
	v_fma_f64 v[76:77], v[42:43], s[6:7], -v[38:39]
	s_mov_b32 s11, 0x3c91a626
	v_fmac_f64_e32 v[76:77], s[10:11], v[42:43]
	v_fmac_f64_e32 v[76:77], s[6:7], v[6:7]
	v_add_f64 v[60:61], v[38:39], v[76:77]
	v_add_f64 v[6:7], v[60:61], -v[38:39]
	v_add_f64 v[76:77], v[76:77], -v[6:7]
	s_andn2_saveexec_b64 s[6:7], s[8:9]
	s_cbranch_execnz .LBB0_71
	s_branch .LBB0_72
.LBB0_70:
	s_andn2_saveexec_b64 s[6:7], s[8:9]
	s_cbranch_execz .LBB0_72
.LBB0_71:
	s_mov_b32 s8, 0x6dc9c883
	s_mov_b32 s9, 0x3fe45f30
	v_mul_f64 v[6:7], |v[4:5]|, s[8:9]
	s_mov_b32 s8, 0x54442d18
	v_rndne_f64_e32 v[6:7], v[6:7]
	s_mov_b32 s9, 0xbff921fb
	v_fma_f64 v[38:39], v[6:7], s[8:9], |v[4:5]|
	s_mov_b32 s9, 0xbc91a626
	s_mov_b32 s8, 0x33145c00
	v_mul_f64 v[60:61], v[6:7], s[8:9]
	v_add_f64 v[94:95], v[38:39], v[60:61]
	v_fma_f64 v[42:43], s[8:9], v[6:7], v[38:39]
	s_mov_b32 s9, 0x3c91a626
	v_add_f64 v[38:39], v[38:39], -v[94:95]
	v_fma_f64 v[76:77], s[8:9], v[6:7], v[60:61]
	v_add_f64 v[38:39], v[38:39], v[60:61]
	v_add_f64 v[60:61], v[94:95], -v[42:43]
	v_add_f64 v[38:39], v[60:61], v[38:39]
	s_mov_b32 s8, 0x252049c0
	v_add_f64 v[38:39], v[38:39], -v[76:77]
	s_mov_b32 s9, 0xb97b839a
	v_fmac_f64_e32 v[38:39], s[8:9], v[6:7]
	v_add_f64 v[60:61], v[42:43], v[38:39]
	v_add_f64 v[42:43], v[60:61], -v[42:43]
	v_add_f64 v[76:77], v[38:39], -v[42:43]
	v_cvt_i32_f64_e32 v93, v[6:7]
.LBB0_72:
	s_or_b64 exec, exec, s[6:7]
	s_load_dwordx2 s[4:5], s[4:5], 0x0
                                        ; implicit-def: $vgpr127 : SGPR spill to VGPR lane
                                        ; implicit-def: $vgpr84
                                        ; implicit-def: $vgpr38_vgpr39
                                        ; implicit-def: $vgpr42_vgpr43
	s_waitcnt lgkmcnt(0)
	v_writelane_b32 v127, s4, 0
	v_writelane_b32 v127, s5, 1
	s_and_saveexec_b64 s[4:5], s[14:15]
	s_xor_b64 s[6:7], exec, s[4:5]
	s_cbranch_execz .LBB0_74
; %bb.73:
	s_mov_b32 s4, 0
	s_mov_b32 s5, 0x7b000000
	s_movk_i32 s8, 0xff80
	v_and_b32_e32 v8, 0x7fffffff, v5
	v_ldexp_f64 v[6:7], |v[4:5]|, s8
	v_cmp_ge_f64_e64 vcc, |v[4:5]|, s[4:5]
	v_cndmask_b32_e32 v7, v8, v7, vcc
	v_cndmask_b32_e32 v6, v4, v6, vcc
	v_mul_f64 v[42:43], v[34:35], v[6:7]
	v_mul_f64 v[38:39], v[32:33], v[6:7]
	v_fma_f64 v[34:35], v[34:35], v[6:7], -v[42:43]
	v_add_f64 v[94:95], v[38:39], v[34:35]
	v_add_f64 v[96:97], v[42:43], v[94:95]
	s_mov_b32 s4, 0
	v_ldexp_f64 v[98:99], v[96:97], -2
	s_mov_b32 s5, 0x7ff00000
	v_fract_f64_e32 v[100:101], v[98:99]
	v_cmp_neq_f64_e64 vcc, |v[98:99]|, s[4:5]
	v_cndmask_b32_e32 v99, 0, v101, vcc
	v_cndmask_b32_e32 v98, 0, v100, vcc
	v_add_f64 v[100:101], v[94:95], -v[38:39]
	v_add_f64 v[34:35], v[34:35], -v[100:101]
	v_add_f64 v[100:101], v[94:95], -v[100:101]
	v_add_f64 v[100:101], v[38:39], -v[100:101]
	v_fma_f64 v[32:33], v[32:33], v[6:7], -v[38:39]
	v_mul_f64 v[38:39], v[26:27], v[6:7]
	v_add_f64 v[34:35], v[34:35], v[100:101]
	v_add_f64 v[100:101], v[38:39], v[32:33]
	;; [unrolled: 1-line block ×3, first 2 shown]
	v_add_f64 v[42:43], v[96:97], -v[42:43]
	v_add_f64 v[96:97], v[104:105], -v[100:101]
	;; [unrolled: 1-line block ×5, first 2 shown]
	v_add_f64 v[34:35], v[34:35], v[96:97]
	v_add_f64 v[96:97], v[100:101], -v[38:39]
	v_add_f64 v[32:33], v[32:33], -v[96:97]
	;; [unrolled: 1-line block ×5, first 2 shown]
	v_add_f64 v[32:33], v[32:33], v[96:97]
	v_add_f64 v[94:95], v[42:43], v[104:105]
	;; [unrolled: 1-line block ×3, first 2 shown]
	v_fma_f64 v[6:7], v[26:27], v[6:7], -v[38:39]
	v_ldexp_f64 v[26:27], v[98:99], 2
	v_add_f64 v[6:7], v[6:7], v[32:33]
	v_add_f64 v[32:33], v[94:95], v[26:27]
	v_mov_b32_e32 v8, 0x40100000
	v_cmp_gt_f64_e32 vcc, 0, v[32:33]
	v_mov_b32_e32 v102, 0
	v_cndmask_b32_e32 v103, 0, v8, vcc
	v_add_f64 v[26:27], v[26:27], v[102:103]
	v_add_f64 v[32:33], v[94:95], v[26:27]
	v_cvt_i32_f64_e32 v8, v[32:33]
	v_cvt_f64_i32_e32 v[32:33], v8
	v_add_f64 v[26:27], v[26:27], -v[32:33]
	v_add_f64 v[32:33], v[94:95], v[26:27]
	v_add_f64 v[42:43], v[94:95], -v[42:43]
	v_cmp_le_f64_e32 vcc, 0.5, v[32:33]
	v_add_f64 v[42:43], v[104:105], -v[42:43]
	v_add_f64 v[26:27], v[32:33], -v[26:27]
	v_addc_co_u32_e64 v84, s[4:5], 0, v8, vcc
	v_mov_b32_e32 v8, 0x3ff00000
	v_add_f64 v[6:7], v[42:43], v[6:7]
	v_add_f64 v[26:27], v[94:95], -v[26:27]
	v_cndmask_b32_e32 v103, 0, v8, vcc
	v_add_f64 v[6:7], v[6:7], v[26:27]
	v_add_f64 v[26:27], v[32:33], -v[102:103]
	v_add_f64 v[32:33], v[26:27], v[6:7]
	s_mov_b32 s4, 0x54442d18
	v_add_f64 v[26:27], v[32:33], -v[26:27]
	s_mov_b32 s5, 0x3ff921fb
	v_add_f64 v[6:7], v[6:7], -v[26:27]
	v_mul_f64 v[26:27], v[32:33], s[4:5]
	s_mov_b32 s8, 0x33145c07
	v_fma_f64 v[34:35], v[32:33], s[4:5], -v[26:27]
	s_mov_b32 s9, 0x3c91a626
	v_fmac_f64_e32 v[34:35], s[8:9], v[32:33]
	v_fmac_f64_e32 v[34:35], s[4:5], v[6:7]
	v_add_f64 v[38:39], v[26:27], v[34:35]
	v_add_f64 v[6:7], v[38:39], -v[26:27]
	v_add_f64 v[42:43], v[34:35], -v[6:7]
.LBB0_74:
	s_or_saveexec_b64 s[4:5], s[6:7]
	v_mul_f64 v[6:7], s[12:13], s[12:13]
	s_xor_b64 exec, exec, s[4:5]
	s_cbranch_execz .LBB0_76
; %bb.75:
	s_mov_b32 s6, 0x6dc9c883
	s_mov_b32 s7, 0x3fe45f30
	v_mul_f64 v[26:27], |v[4:5]|, s[6:7]
	s_mov_b32 s6, 0x54442d18
	v_rndne_f64_e32 v[26:27], v[26:27]
	s_mov_b32 s7, 0xbff921fb
	v_fma_f64 v[32:33], v[26:27], s[6:7], |v[4:5]|
	s_mov_b32 s7, 0xbc91a626
	s_mov_b32 s6, 0x33145c00
	v_mul_f64 v[38:39], v[26:27], s[6:7]
	v_add_f64 v[94:95], v[32:33], v[38:39]
	v_fma_f64 v[34:35], s[6:7], v[26:27], v[32:33]
	s_mov_b32 s7, 0x3c91a626
	v_add_f64 v[32:33], v[32:33], -v[94:95]
	v_fma_f64 v[42:43], s[6:7], v[26:27], v[38:39]
	v_add_f64 v[32:33], v[32:33], v[38:39]
	v_add_f64 v[38:39], v[94:95], -v[34:35]
	v_add_f64 v[32:33], v[38:39], v[32:33]
	s_mov_b32 s6, 0x252049c0
	v_add_f64 v[32:33], v[32:33], -v[42:43]
	s_mov_b32 s7, 0xb97b839a
	v_fmac_f64_e32 v[32:33], s[6:7], v[26:27]
	v_add_f64 v[38:39], v[34:35], v[32:33]
	v_add_f64 v[34:35], v[38:39], -v[34:35]
	v_add_f64 v[42:43], v[32:33], -v[34:35]
	v_cvt_i32_f64_e32 v84, v[26:27]
.LBB0_76:
	s_or_b64 exec, exec, s[4:5]
	v_mul_f64 v[34:35], v[10:11], v[10:11]
	v_mul_f64 v[26:27], v[34:35], 0.5
	v_add_f64 v[32:33], -v[26:27], 1.0
	s_mov_b32 s4, 0x9037ab78
	v_add_f64 v[94:95], -v[32:33], 1.0
	s_mov_b32 s5, 0x3e21eeb6
	s_mov_b32 s8, 0x46cc5e42
	v_add_f64 v[94:95], v[94:95], -v[26:27]
	s_mov_b32 s9, 0xbda907db
	v_pk_mov_b32 v[26:27], s[4:5], s[4:5] op_sel:[0,1]
	s_mov_b32 s10, 0xa17f65f6
	v_fma_f64 v[98:99], s[8:9], v[34:35], v[26:27]
	s_mov_b32 s11, 0xbe927e4f
	s_mov_b32 s14, 0x19f4ec90
	v_fma_f64 v[98:99], v[34:35], v[98:99], s[10:11]
	s_mov_b32 s15, 0x3efa01a0
	;; [unrolled: 3-line block ×4, first 2 shown]
	v_mul_f64 v[96:97], v[34:35], v[34:35]
	v_fma_f64 v[98:99], v[34:35], v[98:99], s[18:19]
	v_fma_f64 v[94:95], v[10:11], -v[12:13], v[94:95]
	s_mov_b32 s4, 0xb42fdfa7
	v_fmac_f64_e32 v[94:95], v[96:97], v[98:99]
	s_mov_b32 s5, 0xbe5ae600
	s_mov_b32 s24, 0xf9a43bb8
	v_add_f64 v[94:95], v[32:33], v[94:95]
	s_mov_b32 s25, 0x3de5e0b2
	v_pk_mov_b32 v[32:33], s[4:5], s[4:5] op_sel:[0,1]
	s_mov_b32 s26, 0x796cde01
	v_fma_f64 v[96:97], s[24:25], v[34:35], v[32:33]
	s_mov_b32 s27, 0x3ec71de3
	s_mov_b32 s28, 0x19e83e5c
	v_fma_f64 v[96:97], v[34:35], v[96:97], s[26:27]
	s_mov_b32 s29, 0xbf2a01a0
	;; [unrolled: 3-line block ×3, first 2 shown]
	v_fma_f64 v[96:97], v[34:35], v[96:97], s[30:31]
	v_mul_f64 v[98:99], v[10:11], -v[34:35]
	v_mul_f64 v[100:101], v[12:13], 0.5
	s_mov_b32 s20, 0x55555555
	v_fmac_f64_e32 v[100:101], v[98:99], v[96:97]
	s_mov_b32 s21, 0xbfc55555
	v_fma_f64 v[12:13], v[34:35], v[100:101], -v[12:13]
	v_fmac_f64_e32 v[12:13], s[20:21], v[98:99]
	v_mov_b32_e32 v126, 0x7ff80000
	v_add_f64 v[10:11], v[10:11], -v[12:13]
	v_cndmask_b32_e64 v12, v51, v126, s[2:3]
	s_brev_b32 s73, -2
	v_cndmask_b32_e64 v96, v50, 0, s[2:3]
	v_bfi_b32 v97, s73, v12, v17
	buffer_store_dword v96, off, s[96:99], 0 offset:184 ; 4-byte Folded Spill
	s_nop 0
	buffer_store_dword v97, off, s[96:99], 0 offset:188 ; 4-byte Folded Spill
	v_and_b32_e32 v8, 1, v91
	v_cmp_eq_u32_e32 vcc, 0, v8
	v_mul_f64 v[12:13], v[72:73], v[72:73]
	v_cndmask_b32_e32 v10, v94, v10, vcc
	v_cndmask_b32_e32 v8, v95, v11, vcc
	s_mov_b32 s34, 0
	v_mul_f64 v[34:35], v[12:13], 0.5
	v_fma_f64 v[94:95], s[8:9], v[12:13], v[26:27]
	s_mov_b32 s35, 0x7ff00000
	v_add_f64 v[50:51], -v[34:35], 1.0
	v_fma_f64 v[94:95], v[12:13], v[94:95], s[10:11]
	v_cmp_lg_f64_e64 s[4:5], s[34:35], v[52:53]
	v_add_f64 v[52:53], -v[50:51], 1.0
	v_fma_f64 v[94:95], v[12:13], v[94:95], s[14:15]
	v_add_f64 v[34:35], v[52:53], -v[34:35]
	v_fma_f64 v[94:95], v[12:13], v[94:95], s[16:17]
	v_mul_f64 v[52:53], v[12:13], v[12:13]
	v_fma_f64 v[94:95], v[12:13], v[94:95], s[18:19]
	v_fma_f64 v[34:35], v[72:73], -v[74:75], v[34:35]
	v_fmac_f64_e32 v[34:35], v[52:53], v[94:95]
	v_add_f64 v[34:35], v[50:51], v[34:35]
	v_fma_f64 v[50:51], s[24:25], v[12:13], v[32:33]
	v_fma_f64 v[50:51], v[12:13], v[50:51], s[26:27]
	;; [unrolled: 1-line block ×4, first 2 shown]
	v_mul_f64 v[52:53], v[72:73], -v[12:13]
	v_mul_f64 v[94:95], v[74:75], 0.5
	v_fmac_f64_e32 v[94:95], v[52:53], v[50:51]
	v_fma_f64 v[12:13], v[12:13], v[94:95], -v[74:75]
	v_fmac_f64_e32 v[12:13], s[20:21], v[52:53]
	v_and_b32_e32 v50, 1, v92
	v_add_f64 v[12:13], v[72:73], -v[12:13]
	v_cmp_eq_u32_e32 vcc, 0, v50
	v_lshlrev_b32_e32 v11, 30, v91
	v_cndmask_b32_e32 v12, v34, v12, vcc
	v_lshlrev_b32_e32 v34, 30, v92
	v_xor_b32_e32 v11, v11, v9
	v_and_b32_e32 v11, 0x80000000, v11
	v_cndmask_b32_e32 v13, v35, v13, vcc
	v_xor_b32_e32 v11, v8, v11
	v_cndmask_b32_e64 v10, 0, v10, s[0:1]
	v_cndmask_b32_e64 v11, v126, v11, s[0:1]
	;; [unrolled: 1-line block ×3, first 2 shown]
	s_mov_b32 s2, 0
	s_brev_b32 s3, 8
	v_mov_b32_e32 v91, 0xffffff80
	v_mov_b32_e32 v92, 0x260
	s_movk_i32 s36, 0x1f8
	v_mul_f64 v[50:51], v[2:3], v[2:3]
	s_mov_b32 s6, 0
	s_brev_b32 s7, 8
	s_mov_b32 s77, 0x3fe55555
	s_mov_b32 s76, s20
	;; [unrolled: 1-line block ×27, first 2 shown]
	v_xor_b32_e32 v34, v34, v97
	v_and_b32_e32 v34, 0x80000000, v34
	v_xor_b32_e32 v13, v13, v34
	v_cndmask_b32_e64 v13, v126, v13, s[4:5]
	v_mul_f64 v[12:13], -v[10:11], v[12:13]
	v_fma_f64 v[10:11], v[2:3], v[2:3], v[6:7]
	v_cmp_gt_f64_e32 vcc, s[2:3], v[10:11]
	v_cndmask_b32_e64 v34, 0, 1, vcc
	v_lshlrev_b32_e32 v34, 8, v34
	v_ldexp_f64 v[10:11], v[10:11], v34
	v_rsq_f64_e32 v[34:35], v[10:11]
	v_cmp_class_f64_e64 s[2:3], v[4:5], s36
	s_mov_b32 s87, 0x3c8543b0
	s_mov_b32 s88, 0x652b82fe
	v_mul_f64 v[52:53], v[10:11], v[34:35]
	v_mul_f64 v[34:35], v[34:35], 0.5
	v_fma_f64 v[72:73], -v[34:35], v[52:53], 0.5
	v_fmac_f64_e32 v[52:53], v[52:53], v[72:73]
	v_fma_f64 v[74:75], -v[52:53], v[52:53], v[10:11]
	v_fmac_f64_e32 v[34:35], v[34:35], v[72:73]
	v_fmac_f64_e32 v[52:53], v[74:75], v[34:35]
	v_fma_f64 v[72:73], -v[52:53], v[52:53], v[10:11]
	v_fmac_f64_e32 v[52:53], v[72:73], v[34:35]
	v_cndmask_b32_e32 v34, 0, v91, vcc
	v_ldexp_f64 v[34:35], v[52:53], v34
	v_cmp_class_f64_e32 vcc, v[10:11], v92
	v_cndmask_b32_e32 v11, v35, v11, vcc
	v_cndmask_b32_e32 v10, v34, v10, vcc
	v_mul_f64 v[34:35], v[60:61], v[60:61]
	v_mul_f64 v[52:53], v[34:35], 0.5
	v_fma_f64 v[94:95], s[8:9], v[34:35], v[26:27]
	v_add_f64 v[72:73], -v[52:53], 1.0
	v_fma_f64 v[94:95], v[34:35], v[94:95], s[10:11]
	v_add_f64 v[74:75], -v[72:73], 1.0
	v_fma_f64 v[94:95], v[34:35], v[94:95], s[14:15]
	v_add_f64 v[52:53], v[74:75], -v[52:53]
	v_fma_f64 v[94:95], v[34:35], v[94:95], s[16:17]
	v_mul_f64 v[74:75], v[34:35], v[34:35]
	v_fma_f64 v[94:95], v[34:35], v[94:95], s[18:19]
	v_fma_f64 v[52:53], v[60:61], -v[76:77], v[52:53]
	v_fmac_f64_e32 v[52:53], v[74:75], v[94:95]
	v_add_f64 v[52:53], v[72:73], v[52:53]
	v_fma_f64 v[72:73], s[24:25], v[34:35], v[32:33]
	v_fma_f64 v[72:73], v[34:35], v[72:73], s[26:27]
	v_fma_f64 v[72:73], v[34:35], v[72:73], s[28:29]
	v_fma_f64 v[72:73], v[34:35], v[72:73], s[30:31]
	v_mul_f64 v[74:75], v[60:61], -v[34:35]
	v_mul_f64 v[94:95], v[76:77], 0.5
	v_fmac_f64_e32 v[94:95], v[74:75], v[72:73]
	v_fma_f64 v[34:35], v[34:35], v[94:95], -v[76:77]
	v_fmac_f64_e32 v[34:35], s[20:21], v[74:75]
	v_add_f64 v[34:35], v[60:61], -v[34:35]
	v_and_b32_e32 v60, 1, v93
	v_cmp_eq_u32_e32 vcc, 0, v60
	v_cndmask_b32_e32 v34, v52, v34, vcc
	v_lshlrev_b32_e32 v52, 30, v93
	v_xor_b32_e32 v52, v52, v5
	v_cndmask_b32_e32 v35, v53, v35, vcc
	v_and_b32_e32 v52, 0x80000000, v52
	v_xor_b32_e32 v35, v35, v52
	v_cndmask_b32_e64 v34, 0, v34, s[2:3]
	v_cndmask_b32_e64 v35, v126, v35, s[2:3]
	v_mul_f64 v[34:35], v[10:11], v[34:35]
	v_div_scale_f64 v[52:53], s[40:41], v[34:35], v[34:35], v[12:13]
	v_rcp_f64_e32 v[60:61], v[52:53]
	s_mov_b32 s89, 0x3ff71547
	s_mov_b32 s91, 0xbfe62e42
	;; [unrolled: 1-line block ×3, first 2 shown]
	v_fma_f64 v[72:73], -v[52:53], v[60:61], 1.0
	v_fmac_f64_e32 v[60:61], v[60:61], v[72:73]
	v_fma_f64 v[72:73], -v[52:53], v[60:61], 1.0
	v_fmac_f64_e32 v[60:61], v[60:61], v[72:73]
	v_div_scale_f64 v[72:73], vcc, v[12:13], v[34:35], v[12:13]
	v_mul_f64 v[74:75], v[72:73], v[60:61]
	v_fma_f64 v[52:53], -v[52:53], v[74:75], v[72:73]
	s_mov_b32 s93, 0xbc7abc9e
	s_nop 0
	v_div_fmas_f64 v[52:53], v[52:53], v[60:61], v[74:75]
	v_div_fixup_f64 v[34:35], v[52:53], v[34:35], v[12:13]
	v_mul_f64 v[12:13], v[58:59], v[58:59]
	v_mul_f64 v[52:53], v[12:13], 0.5
	v_fma_f64 v[74:75], s[8:9], v[12:13], v[26:27]
	v_add_f64 v[60:61], -v[52:53], 1.0
	v_fma_f64 v[74:75], v[12:13], v[74:75], s[10:11]
	v_add_f64 v[72:73], -v[60:61], 1.0
	v_fma_f64 v[74:75], v[12:13], v[74:75], s[14:15]
	v_add_f64 v[52:53], v[72:73], -v[52:53]
	v_fma_f64 v[74:75], v[12:13], v[74:75], s[16:17]
	v_mul_f64 v[72:73], v[12:13], v[12:13]
	v_fma_f64 v[74:75], v[12:13], v[74:75], s[18:19]
	v_fma_f64 v[52:53], v[58:59], -v[62:63], v[52:53]
	v_fmac_f64_e32 v[52:53], v[72:73], v[74:75]
	v_add_f64 v[52:53], v[60:61], v[52:53]
	v_fma_f64 v[60:61], s[24:25], v[12:13], v[32:33]
	v_fma_f64 v[60:61], v[12:13], v[60:61], s[26:27]
	;; [unrolled: 1-line block ×4, first 2 shown]
	v_mul_f64 v[72:73], v[58:59], -v[12:13]
	v_mul_f64 v[74:75], v[62:63], 0.5
	v_fmac_f64_e32 v[74:75], v[72:73], v[60:61]
	v_fma_f64 v[12:13], v[12:13], v[74:75], -v[62:63]
	v_fmac_f64_e32 v[12:13], s[20:21], v[72:73]
	v_add_f64 v[12:13], v[58:59], -v[12:13]
	v_and_b32_e32 v58, 1, v88
	v_cmp_eq_u32_e32 vcc, 0, v58
	v_xor_b32_e32 v13, 0x80000000, v13
	v_cndmask_b32_e32 v12, v12, v52, vcc
	v_lshlrev_b32_e32 v52, 30, v88
	v_cndmask_b32_e32 v13, v13, v53, vcc
	v_and_b32_e32 v52, 0x80000000, v52
	v_xor_b32_e32 v13, v13, v52
	v_cndmask_b32_e64 v12, 0, v12, s[0:1]
	v_cndmask_b32_e64 v13, v126, v13, s[0:1]
	v_mul_f64 v[52:53], v[2:3], v[12:13]
	v_mul_f64 v[12:13], v[28:29], v[28:29]
	v_mul_f64 v[58:59], v[12:13], 0.5
	v_fma_f64 v[72:73], s[8:9], v[12:13], v[26:27]
	v_add_f64 v[60:61], -v[58:59], 1.0
	v_fma_f64 v[72:73], v[12:13], v[72:73], s[10:11]
	v_add_f64 v[62:63], -v[60:61], 1.0
	v_fma_f64 v[72:73], v[12:13], v[72:73], s[14:15]
	v_add_f64 v[58:59], v[62:63], -v[58:59]
	v_fma_f64 v[72:73], v[12:13], v[72:73], s[16:17]
	v_mul_f64 v[62:63], v[12:13], v[12:13]
	v_fma_f64 v[72:73], v[12:13], v[72:73], s[18:19]
	v_fma_f64 v[58:59], v[28:29], -v[30:31], v[58:59]
	v_fmac_f64_e32 v[58:59], v[62:63], v[72:73]
	v_add_f64 v[58:59], v[60:61], v[58:59]
	v_fma_f64 v[60:61], s[24:25], v[12:13], v[32:33]
	v_fma_f64 v[60:61], v[12:13], v[60:61], s[26:27]
	;; [unrolled: 1-line block ×4, first 2 shown]
	v_mul_f64 v[62:63], v[28:29], -v[12:13]
	v_mul_f64 v[72:73], v[30:31], 0.5
	v_fmac_f64_e32 v[72:73], v[62:63], v[60:61]
	v_fma_f64 v[12:13], v[12:13], v[72:73], -v[30:31]
	v_fmac_f64_e32 v[12:13], s[20:21], v[62:63]
	v_add_f64 v[12:13], v[28:29], -v[12:13]
	v_and_b32_e32 v28, 1, v82
	v_cmp_eq_u32_e32 vcc, 0, v28
	v_lshlrev_b32_e32 v28, 30, v82
	v_xor_b32_e32 v9, v28, v9
	v_mul_f64 v[28:29], v[40:41], v[40:41]
	v_mul_f64 v[30:31], v[28:29], 0.5
	v_fma_f64 v[62:63], s[8:9], v[28:29], v[26:27]
	v_cndmask_b32_e32 v12, v58, v12, vcc
	v_cndmask_b32_e32 v13, v59, v13, vcc
	v_add_f64 v[58:59], -v[30:31], 1.0
	v_fma_f64 v[62:63], v[28:29], v[62:63], s[10:11]
	v_add_f64 v[60:61], -v[58:59], 1.0
	v_fma_f64 v[62:63], v[28:29], v[62:63], s[14:15]
	v_add_f64 v[30:31], v[60:61], -v[30:31]
	v_fma_f64 v[62:63], v[28:29], v[62:63], s[16:17]
	v_mul_f64 v[60:61], v[28:29], v[28:29]
	v_fma_f64 v[62:63], v[28:29], v[62:63], s[18:19]
	v_fma_f64 v[30:31], v[40:41], -v[44:45], v[30:31]
	v_fmac_f64_e32 v[30:31], v[60:61], v[62:63]
	v_add_f64 v[30:31], v[58:59], v[30:31]
	v_fma_f64 v[58:59], s[24:25], v[28:29], v[32:33]
	v_fma_f64 v[58:59], v[28:29], v[58:59], s[26:27]
	;; [unrolled: 1-line block ×4, first 2 shown]
	v_mul_f64 v[60:61], v[40:41], -v[28:29]
	v_mul_f64 v[62:63], v[44:45], 0.5
	v_fmac_f64_e32 v[62:63], v[60:61], v[58:59]
	v_fma_f64 v[28:29], v[28:29], v[62:63], -v[44:45]
	v_and_b32_e32 v9, 0x80000000, v9
	v_fmac_f64_e32 v[28:29], s[20:21], v[60:61]
	v_xor_b32_e32 v9, v13, v9
	v_add_f64 v[28:29], v[40:41], -v[28:29]
	v_cndmask_b32_e64 v13, v126, v9, s[0:1]
	v_xor_b32_e32 v9, 0x80000000, v29
	v_and_b32_e32 v29, 1, v85
	v_cmp_eq_u32_e32 vcc, 0, v29
	v_lshlrev_b32_e32 v29, 30, v85
	v_cndmask_b32_e32 v9, v9, v31, vcc
	v_and_b32_e32 v29, 0x80000000, v29
	v_cndmask_b32_e32 v28, v28, v30, vcc
	v_xor_b32_e32 v9, v9, v29
	v_cndmask_b32_e64 v12, 0, v12, s[0:1]
	v_cndmask_b32_e64 v28, 0, v28, s[4:5]
	;; [unrolled: 1-line block ×3, first 2 shown]
	v_mul_f64 v[28:29], -v[12:13], v[28:29]
	v_mul_f64 v[12:13], v[64:65], v[64:65]
	v_mul_f64 v[30:31], v[12:13], 0.5
	v_fma_f64 v[58:59], s[8:9], v[12:13], v[26:27]
	v_add_f64 v[40:41], -v[30:31], 1.0
	v_fma_f64 v[58:59], v[12:13], v[58:59], s[10:11]
	v_add_f64 v[44:45], -v[40:41], 1.0
	v_fma_f64 v[58:59], v[12:13], v[58:59], s[14:15]
	v_add_f64 v[30:31], v[44:45], -v[30:31]
	v_fma_f64 v[58:59], v[12:13], v[58:59], s[16:17]
	v_mul_f64 v[44:45], v[12:13], v[12:13]
	v_fma_f64 v[58:59], v[12:13], v[58:59], s[18:19]
	v_fma_f64 v[30:31], v[64:65], -v[66:67], v[30:31]
	v_fmac_f64_e32 v[30:31], v[44:45], v[58:59]
	v_add_f64 v[30:31], v[40:41], v[30:31]
	v_fma_f64 v[40:41], s[24:25], v[12:13], v[32:33]
	v_fma_f64 v[40:41], v[12:13], v[40:41], s[26:27]
	;; [unrolled: 1-line block ×4, first 2 shown]
	v_mul_f64 v[44:45], v[64:65], -v[12:13]
	v_mul_f64 v[58:59], v[66:67], 0.5
	v_fmac_f64_e32 v[58:59], v[44:45], v[40:41]
	v_fma_f64 v[12:13], v[12:13], v[58:59], -v[66:67]
	v_fmac_f64_e32 v[12:13], s[20:21], v[44:45]
	v_and_b32_e32 v9, 1, v89
	v_add_f64 v[12:13], v[64:65], -v[12:13]
	v_cmp_eq_u32_e32 vcc, 0, v9
	v_cndmask_b32_e32 v9, v30, v12, vcc
	v_cndmask_b32_e32 v12, v31, v13, vcc
	v_lshlrev_b32_e32 v13, 30, v89
	v_xor_b32_e32 v13, v13, v5
	v_and_b32_e32 v13, 0x80000000, v13
	v_xor_b32_e32 v12, v12, v13
	v_cndmask_b32_e64 v31, v126, v12, s[2:3]
	v_mul_f64 v[12:13], v[18:19], v[18:19]
	v_mul_f64 v[44:45], v[12:13], 0.5
	v_fma_f64 v[62:63], s[8:9], v[12:13], v[26:27]
	v_add_f64 v[58:59], -v[44:45], 1.0
	v_fma_f64 v[62:63], v[12:13], v[62:63], s[10:11]
	v_add_f64 v[60:61], -v[58:59], 1.0
	v_fma_f64 v[62:63], v[12:13], v[62:63], s[14:15]
	v_add_f64 v[44:45], v[60:61], -v[44:45]
	v_fma_f64 v[62:63], v[12:13], v[62:63], s[16:17]
	v_mul_f64 v[60:61], v[12:13], v[12:13]
	v_fma_f64 v[62:63], v[12:13], v[62:63], s[18:19]
	v_fma_f64 v[44:45], v[18:19], -v[20:21], v[44:45]
	v_fmac_f64_e32 v[44:45], v[60:61], v[62:63]
	v_add_f64 v[44:45], v[58:59], v[44:45]
	v_fma_f64 v[58:59], s[24:25], v[12:13], v[32:33]
	v_fma_f64 v[58:59], v[12:13], v[58:59], s[26:27]
	;; [unrolled: 1-line block ×4, first 2 shown]
	v_mul_f64 v[60:61], v[18:19], -v[12:13]
	v_mul_f64 v[62:63], v[20:21], 0.5
	v_fmac_f64_e32 v[62:63], v[60:61], v[58:59]
	v_fma_f64 v[12:13], v[12:13], v[62:63], -v[20:21]
	v_fmac_f64_e32 v[12:13], s[20:21], v[60:61]
	v_add_f64 v[12:13], v[18:19], -v[12:13]
	v_cndmask_b32_e64 v30, 0, v9, s[2:3]
	v_xor_b32_e32 v9, 0x80000000, v13
	v_and_b32_e32 v13, 1, v80
	v_mul_f64 v[18:19], v[22:23], v[22:23]
	v_cmp_eq_u32_e32 vcc, 0, v13
	v_mul_f64 v[20:21], v[18:19], 0.5
	v_fma_f64 v[60:61], s[8:9], v[18:19], v[26:27]
	v_cndmask_b32_e32 v12, v12, v44, vcc
	v_cndmask_b32_e32 v9, v9, v45, vcc
	v_add_f64 v[44:45], -v[20:21], 1.0
	v_fma_f64 v[60:61], v[18:19], v[60:61], s[10:11]
	v_add_f64 v[58:59], -v[44:45], 1.0
	v_fma_f64 v[60:61], v[18:19], v[60:61], s[14:15]
	v_add_f64 v[20:21], v[58:59], -v[20:21]
	v_fma_f64 v[60:61], v[18:19], v[60:61], s[16:17]
	v_mul_f64 v[58:59], v[18:19], v[18:19]
	v_fma_f64 v[60:61], v[18:19], v[60:61], s[18:19]
	v_fma_f64 v[20:21], v[22:23], -v[24:25], v[20:21]
	v_fmac_f64_e32 v[20:21], v[58:59], v[60:61]
	v_add_f64 v[20:21], v[44:45], v[20:21]
	v_fma_f64 v[44:45], s[24:25], v[18:19], v[32:33]
	v_fma_f64 v[44:45], v[18:19], v[44:45], s[26:27]
	;; [unrolled: 1-line block ×4, first 2 shown]
	v_mul_f64 v[58:59], v[22:23], -v[18:19]
	v_mul_f64 v[60:61], v[24:25], 0.5
	v_fmac_f64_e32 v[60:61], v[58:59], v[44:45]
	v_lshlrev_b32_e32 v13, 30, v80
	v_fma_f64 v[18:19], v[18:19], v[60:61], -v[24:25]
	v_and_b32_e32 v13, 0x80000000, v13
	v_fmac_f64_e32 v[18:19], s[20:21], v[58:59]
	v_xor_b32_e32 v9, v9, v13
	v_add_f64 v[18:19], v[22:23], -v[18:19]
	v_cndmask_b32_e64 v13, v126, v9, s[2:3]
	v_xor_b32_e32 v9, 0x80000000, v19
	v_and_b32_e32 v19, 1, v81
	v_cmp_eq_u32_e32 vcc, 0, v19
	v_lshlrev_b32_e32 v19, 30, v81
	v_cndmask_b32_e32 v9, v9, v21, vcc
	v_and_b32_e32 v19, 0x80000000, v19
	v_cndmask_b32_e32 v18, v18, v20, vcc
	v_xor_b32_e32 v9, v9, v19
	v_cndmask_b32_e64 v12, 0, v12, s[2:3]
	v_cndmask_b32_e64 v18, 0, v18, s[2:3]
	v_cndmask_b32_e64 v19, v126, v9, s[2:3]
	v_mul_f64 v[12:13], s[12:13], v[12:13]
	v_mul_f64 v[18:19], s[12:13], v[18:19]
	v_fma_f64 v[12:13], v[12:13], v[18:19], v[50:51]
	v_mul_f64 v[18:19], v[68:69], v[68:69]
	v_mul_f64 v[20:21], v[18:19], 0.5
	v_fma_f64 v[44:45], s[8:9], v[18:19], v[26:27]
	v_add_f64 v[22:23], -v[20:21], 1.0
	v_fma_f64 v[44:45], v[18:19], v[44:45], s[10:11]
	v_add_f64 v[24:25], -v[22:23], 1.0
	v_fma_f64 v[44:45], v[18:19], v[44:45], s[14:15]
	v_add_f64 v[20:21], v[24:25], -v[20:21]
	v_fma_f64 v[44:45], v[18:19], v[44:45], s[16:17]
	v_mul_f64 v[24:25], v[18:19], v[18:19]
	v_fma_f64 v[44:45], v[18:19], v[44:45], s[18:19]
	v_fma_f64 v[20:21], v[68:69], -v[70:71], v[20:21]
	v_fmac_f64_e32 v[20:21], v[24:25], v[44:45]
	v_add_f64 v[20:21], v[22:23], v[20:21]
	v_fma_f64 v[22:23], s[24:25], v[18:19], v[32:33]
	v_fma_f64 v[22:23], v[18:19], v[22:23], s[26:27]
	;; [unrolled: 1-line block ×4, first 2 shown]
	v_mul_f64 v[24:25], v[68:69], -v[18:19]
	v_mul_f64 v[44:45], v[70:71], 0.5
	v_fmac_f64_e32 v[44:45], v[24:25], v[22:23]
	v_fma_f64 v[18:19], v[18:19], v[44:45], -v[70:71]
	v_fmac_f64_e32 v[18:19], s[20:21], v[24:25]
	v_add_f64 v[18:19], v[68:69], -v[18:19]
	v_xor_b32_e32 v9, 0x80000000, v19
	v_and_b32_e32 v19, 1, v90
	v_cmp_eq_u32_e32 vcc, 0, v19
	v_lshlrev_b32_e32 v19, 30, v90
	v_cndmask_b32_e32 v9, v9, v21, vcc
	v_and_b32_e32 v19, 0x80000000, v19
	v_cndmask_b32_e32 v18, v18, v20, vcc
	v_xor_b32_e32 v9, v9, v19
	v_mul_f64 v[40:41], v[10:11], v[28:29]
	v_cndmask_b32_e64 v18, 0, v18, s[2:3]
	v_cndmask_b32_e64 v19, v126, v9, s[2:3]
	v_mul_f64 v[18:19], v[40:41], v[18:19]
	v_fmac_f64_e32 v[18:19], v[52:53], v[30:31]
	v_div_scale_f64 v[20:21], s[4:5], v[12:13], v[12:13], -v[18:19]
	v_rcp_f64_e32 v[22:23], v[20:21]
	v_and_b32_e32 v9, 1, v83
	s_mov_b32 s92, s82
	s_mov_b32 s94, 0x6a5dcb37
	v_fma_f64 v[24:25], -v[20:21], v[22:23], 1.0
	v_fmac_f64_e32 v[22:23], v[22:23], v[24:25]
	v_fma_f64 v[24:25], -v[20:21], v[22:23], 1.0
	v_fmac_f64_e32 v[22:23], v[22:23], v[24:25]
	v_div_scale_f64 v[24:25], vcc, -v[18:19], v[12:13], -v[18:19]
	v_mul_f64 v[30:31], v[24:25], v[22:23]
	v_fma_f64 v[20:21], -v[20:21], v[30:31], v[24:25]
	s_mov_b32 s95, 0x3e5ade15
	s_nop 0
	v_div_fmas_f64 v[20:21], v[20:21], v[22:23], v[30:31]
	v_mul_f64 v[22:23], v[36:37], v[36:37]
	v_mul_f64 v[24:25], v[22:23], 0.5
	v_fma_f64 v[44:45], s[8:9], v[22:23], v[26:27]
	v_add_f64 v[30:31], -v[24:25], 1.0
	v_fma_f64 v[44:45], v[22:23], v[44:45], s[10:11]
	v_add_f64 v[40:41], -v[30:31], 1.0
	v_fma_f64 v[44:45], v[22:23], v[44:45], s[14:15]
	v_add_f64 v[24:25], v[40:41], -v[24:25]
	v_fma_f64 v[44:45], v[22:23], v[44:45], s[16:17]
	v_mul_f64 v[40:41], v[22:23], v[22:23]
	v_fma_f64 v[44:45], v[22:23], v[44:45], s[18:19]
	v_fma_f64 v[24:25], v[36:37], -v[0:1], v[24:25]
	v_fmac_f64_e32 v[24:25], v[40:41], v[44:45]
	v_add_f64 v[24:25], v[30:31], v[24:25]
	v_fma_f64 v[30:31], s[24:25], v[22:23], v[32:33]
	v_fma_f64 v[30:31], v[22:23], v[30:31], s[26:27]
	;; [unrolled: 1-line block ×4, first 2 shown]
	v_mul_f64 v[40:41], v[36:37], -v[22:23]
	v_mul_f64 v[44:45], v[0:1], 0.5
	v_fmac_f64_e32 v[44:45], v[40:41], v[30:31]
	v_fma_f64 v[0:1], v[22:23], v[44:45], -v[0:1]
	v_fmac_f64_e32 v[0:1], s[20:21], v[40:41]
	v_add_f64 v[0:1], v[36:37], -v[0:1]
	v_xor_b32_e32 v1, 0x80000000, v1
	v_cmp_eq_u32_e32 vcc, 0, v9
	v_lshlrev_b32_e32 v9, 30, v83
	v_cndmask_b32_e32 v1, v1, v25, vcc
	v_and_b32_e32 v9, 0x80000000, v9
	v_cndmask_b32_e32 v0, v0, v24, vcc
	v_xor_b32_e32 v1, v1, v9
	v_div_fixup_f64 v[18:19], v[20:21], v[12:13], -v[18:19]
	v_mul_f64 v[20:21], v[10:11], v[10:11]
	v_cndmask_b32_e64 v0, 0, v0, s[0:1]
	v_cndmask_b32_e64 v1, v126, v1, s[0:1]
	v_mul_f64 v[0:1], v[20:21], v[0:1]
	v_mul_f64 v[20:21], v[46:47], v[46:47]
	v_mul_f64 v[22:23], v[20:21], 0.5
	v_fma_f64 v[36:37], s[8:9], v[20:21], v[26:27]
	v_add_f64 v[24:25], -v[22:23], 1.0
	v_fma_f64 v[36:37], v[20:21], v[36:37], s[10:11]
	v_add_f64 v[30:31], -v[24:25], 1.0
	v_fma_f64 v[36:37], v[20:21], v[36:37], s[14:15]
	v_add_f64 v[22:23], v[30:31], -v[22:23]
	v_fma_f64 v[36:37], v[20:21], v[36:37], s[16:17]
	v_mul_f64 v[30:31], v[20:21], v[20:21]
	v_fma_f64 v[36:37], v[20:21], v[36:37], s[18:19]
	v_fma_f64 v[22:23], v[46:47], -v[48:49], v[22:23]
	v_fmac_f64_e32 v[22:23], v[30:31], v[36:37]
	v_add_f64 v[22:23], v[24:25], v[22:23]
	v_fma_f64 v[24:25], s[24:25], v[20:21], v[32:33]
	v_fma_f64 v[24:25], v[20:21], v[24:25], s[26:27]
	;; [unrolled: 1-line block ×4, first 2 shown]
	v_mul_f64 v[30:31], v[46:47], -v[20:21]
	v_mul_f64 v[36:37], v[48:49], 0.5
	v_fmac_f64_e32 v[36:37], v[30:31], v[24:25]
	v_fma_f64 v[20:21], v[20:21], v[36:37], -v[48:49]
	v_fmac_f64_e32 v[20:21], s[20:21], v[30:31]
	v_add_f64 v[20:21], v[46:47], -v[20:21]
	v_xor_b32_e32 v9, 0x80000000, v21
	v_and_b32_e32 v21, 1, v86
	v_cmp_eq_u32_e32 vcc, 0, v21
	v_lshlrev_b32_e32 v21, 30, v86
	v_cndmask_b32_e32 v9, v9, v23, vcc
	v_and_b32_e32 v21, 0x80000000, v21
	v_cndmask_b32_e32 v20, v20, v22, vcc
	v_xor_b32_e32 v9, v9, v21
	v_cndmask_b32_e64 v20, 0, v20, s[2:3]
	v_cndmask_b32_e64 v21, v126, v9, s[2:3]
	v_mul_f64 v[0:1], v[0:1], v[20:21]
	v_mul_f64 v[20:21], v[54:55], v[54:55]
	v_mul_f64 v[22:23], v[20:21], 0.5
	v_fma_f64 v[30:31], s[8:9], v[20:21], v[26:27]
	v_mul_f64 v[10:11], v[2:3], v[10:11]
	v_add_f64 v[24:25], -v[22:23], 1.0
	v_fma_f64 v[30:31], v[20:21], v[30:31], s[10:11]
	v_mul_f64 v[10:11], v[10:11], v[28:29]
	v_add_f64 v[28:29], -v[24:25], 1.0
	v_fma_f64 v[30:31], v[20:21], v[30:31], s[14:15]
	v_add_f64 v[22:23], v[28:29], -v[22:23]
	v_fma_f64 v[30:31], v[20:21], v[30:31], s[16:17]
	v_mul_f64 v[28:29], v[20:21], v[20:21]
	v_fma_f64 v[30:31], v[20:21], v[30:31], s[18:19]
	v_fma_f64 v[22:23], v[54:55], -v[56:57], v[22:23]
	v_fmac_f64_e32 v[22:23], v[28:29], v[30:31]
	v_add_f64 v[22:23], v[24:25], v[22:23]
	v_fma_f64 v[24:25], s[24:25], v[20:21], v[32:33]
	v_fma_f64 v[24:25], v[20:21], v[24:25], s[26:27]
	;; [unrolled: 1-line block ×4, first 2 shown]
	v_mul_f64 v[28:29], v[54:55], -v[20:21]
	v_mul_f64 v[30:31], v[56:57], 0.5
	v_fmac_f64_e32 v[30:31], v[28:29], v[24:25]
	v_fma_f64 v[20:21], v[20:21], v[30:31], -v[56:57]
	v_fmac_f64_e32 v[20:21], s[20:21], v[28:29]
	v_and_b32_e32 v9, 1, v87
	v_add_f64 v[20:21], v[54:55], -v[20:21]
	v_cmp_eq_u32_e32 vcc, 0, v9
	v_cndmask_b32_e32 v9, v22, v20, vcc
	v_cndmask_b32_e32 v20, v23, v21, vcc
	v_lshlrev_b32_e32 v21, 30, v87
	v_xor_b32_e32 v21, v21, v5
	v_and_b32_e32 v21, 0x80000000, v21
	v_xor_b32_e32 v21, v20, v21
	v_cndmask_b32_e64 v20, 0, v9, s[2:3]
	v_cndmask_b32_e64 v21, v126, v21, s[2:3]
	v_fma_f64 v[0:1], v[10:11], v[20:21], -v[0:1]
	v_div_scale_f64 v[10:11], s[0:1], v[12:13], v[12:13], -v[0:1]
	v_rcp_f64_e32 v[20:21], v[10:11]
	s_mov_b32 s54, 0x623fde64
	s_mov_b32 s55, 0x3ec71dee
	;; [unrolled: 1-line block ×3, first 2 shown]
	v_fma_f64 v[22:23], -v[10:11], v[20:21], 1.0
	v_fmac_f64_e32 v[20:21], v[20:21], v[22:23]
	v_fma_f64 v[22:23], -v[10:11], v[20:21], 1.0
	v_fmac_f64_e32 v[20:21], v[20:21], v[22:23]
	v_div_scale_f64 v[22:23], vcc, -v[0:1], v[12:13], -v[0:1]
	v_mul_f64 v[24:25], v[22:23], v[20:21]
	v_fma_f64 v[10:11], -v[10:11], v[24:25], v[22:23]
	v_add_f64 v[22:23], -v[6:7], 1.0
	s_nop 0
	v_div_fmas_f64 v[10:11], v[10:11], v[20:21], v[24:25]
	v_cmp_gt_f64_e32 vcc, s[6:7], v[22:23]
	v_cndmask_b32_e64 v9, 0, 1, vcc
	v_lshlrev_b32_e32 v9, 8, v9
	v_div_fixup_f64 v[0:1], v[10:11], v[12:13], -v[0:1]
	v_ldexp_f64 v[10:11], v[22:23], v9
	v_rsq_f64_e32 v[20:21], v[10:11]
	s_and_b64 s[0:1], vcc, exec
	s_cselect_b32 s0, 0xffffff80, 0
	v_cmp_class_f64_e32 vcc, v[10:11], v92
	v_mul_f64 v[24:25], v[10:11], v[20:21]
	v_mul_f64 v[20:21], v[20:21], 0.5
	v_fma_f64 v[28:29], -v[20:21], v[24:25], 0.5
	v_fmac_f64_e32 v[24:25], v[24:25], v[28:29]
	v_fma_f64 v[30:31], -v[24:25], v[24:25], v[10:11]
	v_fmac_f64_e32 v[20:21], v[20:21], v[28:29]
	v_fmac_f64_e32 v[24:25], v[30:31], v[20:21]
	v_fma_f64 v[28:29], -v[24:25], v[24:25], v[10:11]
	v_fmac_f64_e32 v[24:25], v[28:29], v[20:21]
	v_ldexp_f64 v[20:21], v[24:25], s0
	v_cndmask_b32_e32 v11, v21, v11, vcc
	v_cndmask_b32_e32 v10, v20, v10, vcc
	s_mov_b32 s0, 0x88e368f1
	v_add_f64 v[10:11], v[10:11], 1.0
	s_mov_b32 s1, 0x3ee4f8b5
	v_add_f64 v[10:11], v[10:11], s[0:1]
	buffer_store_dword v10, off, s[96:99], 0 offset:224 ; 4-byte Folded Spill
	s_nop 0
	buffer_store_dword v11, off, s[96:99], 0 offset:228 ; 4-byte Folded Spill
	v_cmp_eq_f64_e32 vcc, 1.0, v[22:23]
	v_frexp_mant_f64_e64 v[10:11], |v[22:23]|
	s_and_b64 s[0:1], vcc, exec
	v_cmp_gt_f64_e32 vcc, s[76:77], v[10:11]
	s_cselect_b32 s71, s37, 0x3fd55555
	s_cselect_b32 s70, 0, 0x55555555
	s_and_b64 s[0:1], vcc, exec
	s_cselect_b32 s39, 2.0, 0x3ff00000
	v_mul_f64 v[10:11], v[10:11], s[38:39]
	v_add_f64 v[24:25], v[10:11], 1.0
	v_add_f64 v[28:29], v[24:25], -1.0
	v_add_f64 v[20:21], v[10:11], -1.0
	v_add_f64 v[10:11], v[10:11], -v[28:29]
	v_rcp_f64_e32 v[28:29], v[24:25]
	s_mov_b32 s0, 0x968915a9
	s_mov_b32 s1, 0x3fba6564
	v_frexp_exp_i32_f64_e32 v9, v[22:23]
	v_fma_f64 v[30:31], -v[24:25], v[28:29], 1.0
	v_fmac_f64_e32 v[28:29], v[30:31], v[28:29]
	v_fma_f64 v[30:31], -v[24:25], v[28:29], 1.0
	v_fmac_f64_e32 v[28:29], v[30:31], v[28:29]
	v_mul_f64 v[30:31], v[20:21], v[28:29]
	v_mul_f64 v[36:37], v[24:25], v[30:31]
	v_fma_f64 v[24:25], v[30:31], v[24:25], -v[36:37]
	v_fmac_f64_e32 v[24:25], v[30:31], v[10:11]
	v_add_f64 v[10:11], v[36:37], v[24:25]
	v_add_f64 v[40:41], v[20:21], -v[10:11]
	v_add_f64 v[36:37], v[10:11], -v[36:37]
	;; [unrolled: 1-line block ×5, first 2 shown]
	v_add_f64 v[10:11], v[20:21], v[10:11]
	v_add_f64 v[10:11], v[40:41], v[10:11]
	v_mul_f64 v[10:11], v[28:29], v[10:11]
	v_add_f64 v[20:21], v[30:31], v[10:11]
	v_add_f64 v[24:25], v[20:21], -v[30:31]
	v_add_f64 v[24:25], v[10:11], -v[24:25]
	v_mul_f64 v[10:11], v[20:21], v[20:21]
	v_fma_f64 v[28:29], v[20:21], v[20:21], -v[10:11]
	v_add_f64 v[30:31], v[24:25], v[24:25]
	v_fmac_f64_e32 v[28:29], v[20:21], v[30:31]
	v_add_f64 v[30:31], v[10:11], v[28:29]
	v_add_f64 v[10:11], v[30:31], -v[10:11]
	v_add_f64 v[28:29], v[28:29], -v[10:11]
	v_pk_mov_b32 v[10:11], s[0:1], s[0:1] op_sel:[0,1]
	v_subbrev_co_u32_e32 v9, vcc, 0, v9, vcc
	v_fma_f64 v[36:37], s[78:79], v[30:31], v[10:11]
	v_fma_f64 v[36:37], v[30:31], v[36:37], s[42:43]
	v_cvt_f64_i32_e32 v[40:41], v9
	v_fma_f64 v[36:37], v[30:31], v[36:37], s[48:49]
	v_mul_f64 v[44:45], v[40:41], s[80:81]
	v_fma_f64 v[36:37], v[30:31], v[36:37], s[52:53]
	v_fma_f64 v[46:47], v[40:41], s[80:81], -v[44:45]
	v_mul_f64 v[52:53], v[20:21], v[30:31]
	v_fma_f64 v[36:37], v[30:31], v[36:37], s[74:75]
	v_fmac_f64_e32 v[46:47], s[82:83], v[40:41]
	v_fma_f64 v[54:55], v[30:31], v[20:21], -v[52:53]
	v_fma_f64 v[36:37], v[30:31], v[36:37], s[44:45]
	v_add_f64 v[40:41], v[44:45], v[46:47]
	v_fmac_f64_e32 v[54:55], v[30:31], v[24:25]
	v_fma_f64 v[36:37], v[30:31], v[36:37], s[50:51]
	v_add_f64 v[44:45], v[40:41], -v[44:45]
	v_fmac_f64_e32 v[54:55], v[28:29], v[20:21]
	v_fma_f64 v[36:37], v[30:31], v[36:37], s[46:47]
	v_add_f64 v[44:45], v[46:47], -v[44:45]
	v_ldexp_f64 v[46:47], v[20:21], 1
	v_add_f64 v[20:21], v[52:53], v[54:55]
	v_ldexp_f64 v[48:49], v[24:25], 1
	v_add_f64 v[24:25], v[20:21], -v[52:53]
	v_mul_f64 v[52:53], v[30:31], v[36:37]
	v_fma_f64 v[30:31], v[30:31], v[36:37], -v[52:53]
	v_fmac_f64_e32 v[30:31], v[28:29], v[36:37]
	v_add_f64 v[28:29], v[52:53], v[30:31]
	v_add_f64 v[36:37], v[28:29], -v[52:53]
	v_add_f64 v[30:31], v[30:31], -v[36:37]
	v_add_f64 v[36:37], v[28:29], s[76:77]
	v_add_f64 v[52:53], v[36:37], s[84:85]
	v_add_f64 v[28:29], v[28:29], -v[52:53]
	v_add_f64 v[30:31], v[30:31], s[86:87]
	v_add_f64 v[28:29], v[30:31], v[28:29]
	;; [unrolled: 1-line block ×3, first 2 shown]
	v_add_f64 v[36:37], v[36:37], -v[30:31]
	v_add_f64 v[28:29], v[28:29], v[36:37]
	v_mul_f64 v[36:37], v[20:21], v[30:31]
	v_fma_f64 v[52:53], v[20:21], v[30:31], -v[36:37]
	v_add_f64 v[24:25], v[54:55], -v[24:25]
	v_fmac_f64_e32 v[52:53], v[20:21], v[28:29]
	v_fmac_f64_e32 v[52:53], v[24:25], v[30:31]
	v_add_f64 v[20:21], v[36:37], v[52:53]
	v_add_f64 v[24:25], v[20:21], -v[36:37]
	v_add_f64 v[28:29], v[46:47], v[20:21]
	v_add_f64 v[24:25], v[52:53], -v[24:25]
	v_add_f64 v[30:31], v[28:29], -v[46:47]
	;; [unrolled: 1-line block ×3, first 2 shown]
	v_add_f64 v[24:25], v[48:49], v[24:25]
	v_add_f64 v[20:21], v[24:25], v[20:21]
	;; [unrolled: 1-line block ×3, first 2 shown]
	v_add_f64 v[28:29], v[24:25], -v[28:29]
	v_add_f64 v[20:21], v[20:21], -v[28:29]
	v_add_f64 v[28:29], v[40:41], v[24:25]
	v_add_f64 v[30:31], v[28:29], -v[40:41]
	v_add_f64 v[36:37], v[28:29], -v[30:31]
	;; [unrolled: 1-line block ×4, first 2 shown]
	v_add_f64 v[24:25], v[24:25], v[36:37]
	v_add_f64 v[30:31], v[44:45], v[20:21]
	v_add_f64 v[36:37], v[30:31], -v[44:45]
	v_add_f64 v[24:25], v[30:31], v[24:25]
	v_add_f64 v[40:41], v[30:31], -v[36:37]
	v_add_f64 v[30:31], v[28:29], v[24:25]
	v_add_f64 v[40:41], v[44:45], -v[40:41]
	v_add_f64 v[20:21], v[20:21], -v[36:37]
	v_add_f64 v[28:29], v[30:31], -v[28:29]
	v_add_f64 v[20:21], v[20:21], v[40:41]
	v_add_f64 v[24:25], v[24:25], -v[28:29]
	v_add_f64 v[20:21], v[20:21], v[24:25]
	v_add_f64 v[24:25], v[30:31], v[20:21]
	v_add_f64 v[28:29], v[24:25], -v[30:31]
	v_add_f64 v[20:21], v[20:21], -v[28:29]
	v_mul_f64 v[28:29], s[70:71], v[24:25]
	v_fma_f64 v[24:25], s[70:71], v[24:25], -v[28:29]
	v_fmac_f64_e32 v[24:25], s[70:71], v[20:21]
	s_movk_i32 s6, 0x204
	v_add_f64 v[20:21], v[28:29], v[24:25]
	v_cmp_class_f64_e64 vcc, v[28:29], s6
	v_add_f64 v[30:31], v[20:21], -v[28:29]
	v_cndmask_b32_e32 v29, v21, v29, vcc
	v_cndmask_b32_e32 v28, v20, v28, vcc
	v_mul_f64 v[20:21], v[28:29], s[88:89]
	v_add_f64 v[24:25], v[24:25], -v[30:31]
	v_rndne_f64_e32 v[30:31], v[20:21]
	s_mov_b32 s0, 0xfca7ab0c
	v_fma_f64 v[36:37], s[90:91], v[30:31], v[28:29]
	s_mov_b32 s1, 0x3e928af3
	v_fmac_f64_e32 v[36:37], s[92:93], v[30:31]
	v_pk_mov_b32 v[20:21], s[0:1], s[0:1] op_sel:[0,1]
	v_fma_f64 v[40:41], s[94:95], v[36:37], v[20:21]
	v_fma_f64 v[40:41], v[36:37], v[40:41], s[54:55]
	s_mov_b32 s57, 0x3efa0199
	s_mov_b32 s58, 0x14761f6e
	v_fma_f64 v[40:41], v[36:37], v[40:41], s[56:57]
	s_mov_b32 s59, 0x3f2a01a0
	s_mov_b32 s60, 0x1852b7b0
	v_fma_f64 v[40:41], v[36:37], v[40:41], s[58:59]
	s_mov_b32 s61, 0x3f56c16c
	v_fma_f64 v[40:41], v[36:37], v[40:41], s[60:61]
	s_mov_b32 s62, 0x11122322
	s_mov_b32 s63, s31
	v_fma_f64 v[40:41], v[36:37], v[40:41], s[62:63]
	s_mov_b32 s64, 0x555502a1
	s_mov_b32 s65, s19
	;; [unrolled: 1-line block ×3, first 2 shown]
	v_fma_f64 v[40:41], v[36:37], v[40:41], s[64:65]
	s_mov_b32 s67, 0x3fc55555
	s_mov_b32 s68, 11
	v_fma_f64 v[40:41], v[36:37], v[40:41], s[66:67]
	s_mov_b32 s69, 0x3fe00000
	v_fma_f64 v[40:41], v[36:37], v[40:41], s[68:69]
	v_fma_f64 v[40:41], v[36:37], v[40:41], 1.0
	s_mov_b32 s22, 0
	v_cmp_neq_f64_e64 vcc, |v[28:29]|, s[34:35]
	v_fma_f64 v[36:37], v[36:37], v[40:41], 1.0
	v_cvt_i32_f64_e32 v9, v[30:31]
	s_mov_b32 s23, 0x40900000
	s_mov_b32 s40, 0
	v_cndmask_b32_e32 v25, 0, v25, vcc
	v_cndmask_b32_e32 v24, 0, v24, vcc
	v_ldexp_f64 v[30:31], v[36:37], v9
	v_cmp_lt_f64_e32 vcc, s[22:23], v[28:29]
	v_mov_b32_e32 v60, 0x7ff00000
	s_mov_b32 s41, 0xc090cc00
	v_cndmask_b32_e64 v9, v30, 0, vcc
	v_cndmask_b32_e32 v36, v31, v60, vcc
	v_cmp_ngt_f64_e64 s[0:1], s[40:41], v[28:29]
	v_and_b32_e32 v31, 0x7fffffff, v31
	v_cndmask_b32_e64 v29, 0, v36, s[0:1]
	v_cndmask_b32_e64 v28, 0, v9, s[0:1]
	v_cmp_eq_f64_e64 s[4:5], s[34:35], v[30:31]
	v_pk_mov_b32 v[36:37], v[28:29], v[28:29] op_sel:[0,1]
	s_or_b64 s[4:5], vcc, s[4:5]
	v_fmac_f64_e32 v[36:37], v[36:37], v[24:25]
	s_and_b64 vcc, s[0:1], s[4:5]
	v_trunc_f64_e32 v[24:25], s[70:71]
	v_cndmask_b32_e32 v9, v36, v28, vcc
	v_cndmask_b32_e32 v30, v37, v29, vcc
	v_cmp_eq_f64_e32 vcc, s[70:71], v[24:25]
	v_mul_f64 v[24:25], s[70:71], 0.5
	v_trunc_f64_e32 v[28:29], v[24:25]
	v_cmp_neq_f64_e64 s[0:1], v[28:29], v[24:25]
	s_and_b64 s[0:1], vcc, s[0:1]
	v_mov_b32_e32 v61, 0x3ff00000
	v_cndmask_b32_e64 v24, v61, v23, s[0:1]
	s_mov_b64 s[4:5], 0
	v_bfi_b32 v24, s73, v30, v24
	v_writelane_b32 v127, s4, 2
	v_writelane_b32 v127, s5, 3
	v_cmp_gt_f64_e64 s[4:5], 0, v[22:23]
	v_cndmask_b32_e32 v25, v126, v24, vcc
	v_cndmask_b32_e32 v28, 0, v9, vcc
	v_cndmask_b32_e64 v9, v9, v28, s[4:5]
	v_cndmask_b32_e64 v24, v24, v25, s[4:5]
	v_cmp_class_f64_e64 s[4:5], v[22:23], s6
	v_cmp_eq_f64_e32 vcc, 0, v[22:23]
	s_or_b64 s[4:5], vcc, s[4:5]
	s_and_b64 s[70:71], vcc, exec
	s_cselect_b32 s39, 0, 0x7ff00000
	v_cndmask_b32_e64 v25, 0, v23, s[0:1]
	v_mov_b32_e32 v28, s39
	v_bfi_b32 v25, s73, v28, v25
	v_cndmask_b32_e64 v24, v24, v25, s[4:5]
	v_cmp_o_f64_e32 vcc, v[22:23], v[22:23]
	v_cndmask_b32_e64 v9, v9, 0, s[4:5]
	v_cndmask_b32_e32 v23, v126, v24, vcc
	v_add_f64 v[24:25], s[12:13], 1.0
	v_cndmask_b32_e32 v22, 0, v9, vcc
	v_cmp_eq_f64_e32 vcc, 1.0, v[24:25]
	v_frexp_mant_f64_e64 v[28:29], |v[24:25]|
	s_and_b64 s[0:1], vcc, exec
	v_cmp_gt_f64_e32 vcc, s[76:77], v[28:29]
	s_cselect_b32 s71, s37, 0x3fd55555
	s_cselect_b32 s70, 0, 0x55555555
	s_and_b64 s[0:1], vcc, exec
	s_cselect_b32 s39, 2.0, 0x3ff00000
	v_mul_f64 v[28:29], v[28:29], s[38:39]
	v_add_f64 v[36:37], v[28:29], 1.0
	v_add_f64 v[40:41], v[36:37], -1.0
	v_add_f64 v[30:31], v[28:29], -1.0
	v_add_f64 v[28:29], v[28:29], -v[40:41]
	v_rcp_f64_e32 v[40:41], v[36:37]
	v_frexp_exp_i32_f64_e32 v9, v[24:25]
	v_subbrev_co_u32_e32 v9, vcc, 0, v9, vcc
	v_fma_f64 v[44:45], -v[36:37], v[40:41], 1.0
	v_fmac_f64_e32 v[40:41], v[44:45], v[40:41]
	v_fma_f64 v[44:45], -v[36:37], v[40:41], 1.0
	v_fmac_f64_e32 v[40:41], v[44:45], v[40:41]
	v_mul_f64 v[44:45], v[30:31], v[40:41]
	v_mul_f64 v[46:47], v[36:37], v[44:45]
	v_fma_f64 v[36:37], v[44:45], v[36:37], -v[46:47]
	v_fmac_f64_e32 v[36:37], v[44:45], v[28:29]
	v_add_f64 v[28:29], v[46:47], v[36:37]
	v_add_f64 v[48:49], v[30:31], -v[28:29]
	v_add_f64 v[46:47], v[28:29], -v[46:47]
	;; [unrolled: 1-line block ×5, first 2 shown]
	v_add_f64 v[28:29], v[30:31], v[28:29]
	v_add_f64 v[28:29], v[48:49], v[28:29]
	v_mul_f64 v[28:29], v[40:41], v[28:29]
	v_add_f64 v[30:31], v[44:45], v[28:29]
	v_add_f64 v[36:37], v[30:31], -v[44:45]
	v_add_f64 v[28:29], v[28:29], -v[36:37]
	v_mul_f64 v[36:37], v[30:31], v[30:31]
	v_fma_f64 v[40:41], v[30:31], v[30:31], -v[36:37]
	v_add_f64 v[44:45], v[28:29], v[28:29]
	v_fmac_f64_e32 v[40:41], v[30:31], v[44:45]
	v_add_f64 v[44:45], v[36:37], v[40:41]
	v_add_f64 v[36:37], v[44:45], -v[36:37]
	v_add_f64 v[36:37], v[40:41], -v[36:37]
	v_fma_f64 v[40:41], s[78:79], v[44:45], v[10:11]
	v_fma_f64 v[40:41], v[44:45], v[40:41], s[42:43]
	;; [unrolled: 1-line block ×3, first 2 shown]
	v_cvt_f64_i32_e32 v[46:47], v9
	v_fma_f64 v[40:41], v[44:45], v[40:41], s[52:53]
	v_mul_f64 v[48:49], v[46:47], s[80:81]
	v_mul_f64 v[56:57], v[30:31], v[44:45]
	v_fma_f64 v[40:41], v[44:45], v[40:41], s[74:75]
	v_fma_f64 v[52:53], v[46:47], s[80:81], -v[48:49]
	v_fma_f64 v[58:59], v[44:45], v[30:31], -v[56:57]
	v_fma_f64 v[40:41], v[44:45], v[40:41], s[44:45]
	v_fmac_f64_e32 v[52:53], s[82:83], v[46:47]
	v_fmac_f64_e32 v[58:59], v[44:45], v[28:29]
	v_fma_f64 v[40:41], v[44:45], v[40:41], s[50:51]
	v_add_f64 v[46:47], v[48:49], v[52:53]
	v_fmac_f64_e32 v[58:59], v[36:37], v[30:31]
	v_fma_f64 v[40:41], v[44:45], v[40:41], s[46:47]
	v_add_f64 v[48:49], v[46:47], -v[48:49]
	v_ldexp_f64 v[54:55], v[28:29], 1
	v_add_f64 v[28:29], v[56:57], v[58:59]
	v_add_f64 v[48:49], v[52:53], -v[48:49]
	v_ldexp_f64 v[52:53], v[30:31], 1
	v_add_f64 v[30:31], v[28:29], -v[56:57]
	v_mul_f64 v[56:57], v[44:45], v[40:41]
	v_fma_f64 v[44:45], v[44:45], v[40:41], -v[56:57]
	v_fmac_f64_e32 v[44:45], v[36:37], v[40:41]
	v_add_f64 v[36:37], v[56:57], v[44:45]
	v_add_f64 v[40:41], v[36:37], -v[56:57]
	v_add_f64 v[40:41], v[44:45], -v[40:41]
	v_add_f64 v[44:45], v[36:37], s[76:77]
	v_add_f64 v[56:57], v[44:45], s[84:85]
	v_add_f64 v[36:37], v[36:37], -v[56:57]
	v_add_f64 v[40:41], v[40:41], s[86:87]
	v_add_f64 v[36:37], v[40:41], v[36:37]
	;; [unrolled: 1-line block ×3, first 2 shown]
	v_add_f64 v[44:45], v[44:45], -v[40:41]
	v_add_f64 v[36:37], v[36:37], v[44:45]
	v_mul_f64 v[44:45], v[28:29], v[40:41]
	v_fma_f64 v[56:57], v[28:29], v[40:41], -v[44:45]
	v_add_f64 v[30:31], v[58:59], -v[30:31]
	v_fmac_f64_e32 v[56:57], v[28:29], v[36:37]
	v_fmac_f64_e32 v[56:57], v[30:31], v[40:41]
	v_add_f64 v[28:29], v[44:45], v[56:57]
	v_add_f64 v[30:31], v[28:29], -v[44:45]
	v_add_f64 v[36:37], v[52:53], v[28:29]
	v_add_f64 v[30:31], v[56:57], -v[30:31]
	v_add_f64 v[40:41], v[36:37], -v[52:53]
	;; [unrolled: 1-line block ×3, first 2 shown]
	v_add_f64 v[30:31], v[54:55], v[30:31]
	v_add_f64 v[28:29], v[30:31], v[28:29]
	;; [unrolled: 1-line block ×3, first 2 shown]
	v_add_f64 v[36:37], v[30:31], -v[36:37]
	v_add_f64 v[28:29], v[28:29], -v[36:37]
	v_add_f64 v[36:37], v[46:47], v[30:31]
	v_add_f64 v[40:41], v[36:37], -v[46:47]
	v_add_f64 v[44:45], v[36:37], -v[40:41]
	;; [unrolled: 1-line block ×4, first 2 shown]
	v_add_f64 v[30:31], v[30:31], v[44:45]
	v_add_f64 v[40:41], v[48:49], v[28:29]
	v_add_f64 v[44:45], v[40:41], -v[48:49]
	v_add_f64 v[30:31], v[40:41], v[30:31]
	v_add_f64 v[46:47], v[40:41], -v[44:45]
	;; [unrolled: 2-line block ×3, first 2 shown]
	v_add_f64 v[28:29], v[28:29], -v[44:45]
	v_add_f64 v[36:37], v[40:41], -v[36:37]
	v_add_f64 v[28:29], v[28:29], v[46:47]
	v_add_f64 v[30:31], v[30:31], -v[36:37]
	v_add_f64 v[28:29], v[28:29], v[30:31]
	v_add_f64 v[30:31], v[40:41], v[28:29]
	v_add_f64 v[36:37], v[30:31], -v[40:41]
	v_add_f64 v[28:29], v[28:29], -v[36:37]
	v_mul_f64 v[36:37], s[70:71], v[30:31]
	v_fma_f64 v[30:31], s[70:71], v[30:31], -v[36:37]
	v_fmac_f64_e32 v[30:31], s[70:71], v[28:29]
	v_add_f64 v[28:29], v[36:37], v[30:31]
	v_cmp_class_f64_e64 vcc, v[36:37], s6
	v_add_f64 v[40:41], v[28:29], -v[36:37]
	v_cndmask_b32_e32 v29, v29, v37, vcc
	v_cndmask_b32_e32 v28, v28, v36, vcc
	v_mul_f64 v[36:37], v[28:29], s[88:89]
	v_rndne_f64_e32 v[36:37], v[36:37]
	v_add_f64 v[30:31], v[30:31], -v[40:41]
	v_fma_f64 v[40:41], s[90:91], v[36:37], v[28:29]
	v_fmac_f64_e32 v[40:41], s[92:93], v[36:37]
	v_fma_f64 v[44:45], s[94:95], v[40:41], v[20:21]
	v_fma_f64 v[44:45], v[40:41], v[44:45], s[54:55]
	;; [unrolled: 1-line block ×9, first 2 shown]
	v_cmp_neq_f64_e64 vcc, |v[28:29]|, s[34:35]
	v_fma_f64 v[44:45], v[40:41], v[44:45], 1.0
	v_cndmask_b32_e32 v31, 0, v31, vcc
	v_cndmask_b32_e32 v30, 0, v30, vcc
	v_fma_f64 v[40:41], v[40:41], v[44:45], 1.0
	v_cvt_i32_f64_e32 v9, v[36:37]
	v_cmp_lt_f64_e32 vcc, s[22:23], v[28:29]
	v_ldexp_f64 v[36:37], v[40:41], v9
	s_and_b64 s[0:1], vcc, exec
	v_readfirstlane_b32 s39, v36
	v_cmp_ngt_f64_e64 s[0:1], s[40:41], v[28:29]
	s_cselect_b32 s72, 0, s39
	s_and_b64 s[4:5], s[0:1], exec
	v_cndmask_b32_e32 v9, v37, v60, vcc
	s_cselect_b32 s72, s72, 0
	v_cndmask_b32_e64 v29, 0, v9, s[0:1]
	v_mov_b32_e32 v28, s72
	v_pk_mov_b32 v[40:41], v[28:29], v[28:29] op_sel:[0,1]
	v_fmac_f64_e32 v[40:41], v[40:41], v[30:31]
	v_and_b32_e32 v31, 0x7fffffff, v37
	v_mov_b32_e32 v30, s39
	v_cmp_eq_f64_e64 s[4:5], s[34:35], v[30:31]
	s_or_b64 s[4:5], vcc, s[4:5]
	s_and_b64 vcc, s[0:1], s[4:5]
	v_cndmask_b32_e32 v9, v41, v29, vcc
	v_trunc_f64_e32 v[28:29], s[70:71]
	s_and_b64 s[0:1], vcc, exec
	v_cmp_eq_f64_e32 vcc, s[70:71], v[28:29]
	v_mul_f64 v[28:29], s[70:71], 0.5
	v_trunc_f64_e32 v[30:31], v[28:29]
	v_readfirstlane_b32 s4, v40
	v_cmp_neq_f64_e64 s[0:1], v[30:31], v[28:29]
	s_cselect_b32 s39, s72, s4
	s_and_b64 s[0:1], vcc, s[0:1]
	v_cndmask_b32_e64 v28, v61, v25, s[0:1]
	v_bfi_b32 v9, s73, v9, v28
	v_cmp_gt_f64_e64 s[4:5], 0, v[24:25]
	v_cndmask_b32_e32 v28, v126, v9, vcc
	s_and_b64 s[70:71], vcc, exec
	s_cselect_b32 s72, s39, 0
	s_and_b64 s[70:71], s[4:5], exec
	v_cndmask_b32_e64 v9, v9, v28, s[4:5]
	v_cmp_class_f64_e64 s[4:5], v[24:25], s6
	v_cmp_eq_f64_e32 vcc, 0, v[24:25]
	s_cselect_b32 s39, s72, s39
	s_or_b64 s[4:5], vcc, s[4:5]
	s_and_b64 s[70:71], vcc, exec
	s_cselect_b32 s70, 0, 0x7ff00000
	v_cndmask_b32_e64 v28, 0, v25, s[0:1]
	v_mov_b32_e32 v29, s70
	v_bfi_b32 v28, s73, v29, v28
	s_and_b64 s[0:1], s[4:5], exec
	v_cmp_o_f64_e32 vcc, v[24:25], v[24:25]
	v_cndmask_b32_e64 v9, v9, v28, s[4:5]
	s_cselect_b32 s4, 0, s39
	s_and_b64 s[0:1], vcc, exec
	s_cselect_b32 s0, s4, 0
	v_cndmask_b32_e32 v25, v126, v9, vcc
	v_mov_b32_e32 v24, s0
	v_fma_f64 v[22:23], v[24:25], v[22:23], 1.0
	v_add_f64 v[24:25], -s[12:13], 1.0
	v_cmp_eq_f64_e32 vcc, 1.0, v[24:25]
	v_frexp_mant_f64_e64 v[28:29], |v[24:25]|
	s_and_b64 s[0:1], vcc, exec
	v_cmp_gt_f64_e32 vcc, s[76:77], v[28:29]
	s_cselect_b32 s71, s37, 0x3fd55555
	s_cselect_b32 s70, 0, 0x55555555
	s_and_b64 s[0:1], vcc, exec
	s_cselect_b32 s39, 2.0, 0x3ff00000
	v_mul_f64 v[28:29], v[28:29], s[38:39]
	v_add_f64 v[36:37], v[28:29], 1.0
	v_add_f64 v[40:41], v[36:37], -1.0
	v_add_f64 v[30:31], v[28:29], -1.0
	v_add_f64 v[28:29], v[28:29], -v[40:41]
	v_rcp_f64_e32 v[40:41], v[36:37]
	v_frexp_exp_i32_f64_e32 v9, v[24:25]
	v_subbrev_co_u32_e32 v9, vcc, 0, v9, vcc
	v_fma_f64 v[44:45], -v[36:37], v[40:41], 1.0
	v_fmac_f64_e32 v[40:41], v[44:45], v[40:41]
	v_fma_f64 v[44:45], -v[36:37], v[40:41], 1.0
	v_fmac_f64_e32 v[40:41], v[44:45], v[40:41]
	v_mul_f64 v[44:45], v[30:31], v[40:41]
	v_mul_f64 v[46:47], v[36:37], v[44:45]
	v_fma_f64 v[36:37], v[44:45], v[36:37], -v[46:47]
	v_fmac_f64_e32 v[36:37], v[44:45], v[28:29]
	v_add_f64 v[28:29], v[46:47], v[36:37]
	v_add_f64 v[48:49], v[30:31], -v[28:29]
	v_add_f64 v[46:47], v[28:29], -v[46:47]
	;; [unrolled: 1-line block ×5, first 2 shown]
	v_add_f64 v[28:29], v[30:31], v[28:29]
	v_add_f64 v[28:29], v[48:49], v[28:29]
	v_mul_f64 v[28:29], v[40:41], v[28:29]
	v_add_f64 v[30:31], v[44:45], v[28:29]
	v_add_f64 v[36:37], v[30:31], -v[44:45]
	v_add_f64 v[28:29], v[28:29], -v[36:37]
	v_mul_f64 v[36:37], v[30:31], v[30:31]
	v_fma_f64 v[40:41], v[30:31], v[30:31], -v[36:37]
	v_add_f64 v[44:45], v[28:29], v[28:29]
	v_fmac_f64_e32 v[40:41], v[30:31], v[44:45]
	v_add_f64 v[44:45], v[36:37], v[40:41]
	v_fmac_f64_e32 v[10:11], s[78:79], v[44:45]
	v_add_f64 v[36:37], v[44:45], -v[36:37]
	v_fma_f64 v[10:11], v[44:45], v[10:11], s[42:43]
	v_add_f64 v[36:37], v[40:41], -v[36:37]
	v_fma_f64 v[10:11], v[44:45], v[10:11], s[48:49]
	v_cvt_f64_i32_e32 v[40:41], v9
	v_fma_f64 v[10:11], v[44:45], v[10:11], s[52:53]
	v_mul_f64 v[46:47], v[40:41], s[80:81]
	v_mul_f64 v[54:55], v[30:31], v[44:45]
	v_fma_f64 v[10:11], v[44:45], v[10:11], s[74:75]
	v_fma_f64 v[48:49], v[40:41], s[80:81], -v[46:47]
	v_fma_f64 v[56:57], v[44:45], v[30:31], -v[54:55]
	v_fma_f64 v[10:11], v[44:45], v[10:11], s[44:45]
	v_fmac_f64_e32 v[48:49], s[82:83], v[40:41]
	v_fmac_f64_e32 v[56:57], v[44:45], v[28:29]
	v_fma_f64 v[10:11], v[44:45], v[10:11], s[50:51]
	v_add_f64 v[40:41], v[46:47], v[48:49]
	v_fmac_f64_e32 v[56:57], v[36:37], v[30:31]
	v_fma_f64 v[10:11], v[44:45], v[10:11], s[46:47]
	v_add_f64 v[46:47], v[40:41], -v[46:47]
	v_ldexp_f64 v[52:53], v[28:29], 1
	v_add_f64 v[28:29], v[54:55], v[56:57]
	v_add_f64 v[46:47], v[48:49], -v[46:47]
	v_ldexp_f64 v[48:49], v[30:31], 1
	v_add_f64 v[30:31], v[28:29], -v[54:55]
	v_mul_f64 v[54:55], v[44:45], v[10:11]
	v_fma_f64 v[44:45], v[44:45], v[10:11], -v[54:55]
	v_fmac_f64_e32 v[44:45], v[36:37], v[10:11]
	v_add_f64 v[10:11], v[54:55], v[44:45]
	v_add_f64 v[36:37], v[10:11], -v[54:55]
	v_add_f64 v[36:37], v[44:45], -v[36:37]
	v_add_f64 v[44:45], v[10:11], s[76:77]
	v_add_f64 v[54:55], v[44:45], s[84:85]
	v_add_f64 v[10:11], v[10:11], -v[54:55]
	v_add_f64 v[36:37], v[36:37], s[86:87]
	v_add_f64 v[10:11], v[36:37], v[10:11]
	;; [unrolled: 1-line block ×3, first 2 shown]
	v_add_f64 v[44:45], v[44:45], -v[36:37]
	v_add_f64 v[10:11], v[10:11], v[44:45]
	v_mul_f64 v[44:45], v[28:29], v[36:37]
	v_fma_f64 v[54:55], v[28:29], v[36:37], -v[44:45]
	v_add_f64 v[30:31], v[56:57], -v[30:31]
	v_fmac_f64_e32 v[54:55], v[28:29], v[10:11]
	v_fmac_f64_e32 v[54:55], v[30:31], v[36:37]
	v_add_f64 v[10:11], v[44:45], v[54:55]
	v_add_f64 v[28:29], v[10:11], -v[44:45]
	v_add_f64 v[30:31], v[48:49], v[10:11]
	v_add_f64 v[28:29], v[54:55], -v[28:29]
	v_add_f64 v[36:37], v[30:31], -v[48:49]
	v_add_f64 v[10:11], v[10:11], -v[36:37]
	v_add_f64 v[28:29], v[52:53], v[28:29]
	v_add_f64 v[10:11], v[28:29], v[10:11]
	v_add_f64 v[28:29], v[30:31], v[10:11]
	v_add_f64 v[30:31], v[28:29], -v[30:31]
	v_add_f64 v[10:11], v[10:11], -v[30:31]
	v_add_f64 v[30:31], v[40:41], v[28:29]
	v_add_f64 v[36:37], v[30:31], -v[40:41]
	v_add_f64 v[44:45], v[30:31], -v[36:37]
	;; [unrolled: 1-line block ×4, first 2 shown]
	v_add_f64 v[28:29], v[28:29], v[40:41]
	v_add_f64 v[36:37], v[46:47], v[10:11]
	v_add_f64 v[40:41], v[36:37], -v[46:47]
	v_add_f64 v[28:29], v[36:37], v[28:29]
	v_add_f64 v[44:45], v[36:37], -v[40:41]
	v_add_f64 v[36:37], v[30:31], v[28:29]
	v_add_f64 v[44:45], v[46:47], -v[44:45]
	v_add_f64 v[10:11], v[10:11], -v[40:41]
	v_add_f64 v[30:31], v[36:37], -v[30:31]
	v_add_f64 v[10:11], v[10:11], v[44:45]
	v_add_f64 v[28:29], v[28:29], -v[30:31]
	v_add_f64 v[10:11], v[10:11], v[28:29]
	v_add_f64 v[28:29], v[36:37], v[10:11]
	v_add_f64 v[30:31], v[28:29], -v[36:37]
	v_add_f64 v[10:11], v[10:11], -v[30:31]
	v_mul_f64 v[30:31], s[70:71], v[28:29]
	v_fma_f64 v[28:29], s[70:71], v[28:29], -v[30:31]
	s_movk_i32 s37, 0x204
	v_fmac_f64_e32 v[28:29], s[70:71], v[10:11]
	v_add_f64 v[10:11], v[30:31], v[28:29]
	v_cmp_class_f64_e64 vcc, v[30:31], s37
	v_add_f64 v[36:37], v[10:11], -v[30:31]
	v_cndmask_b32_e32 v11, v11, v31, vcc
	v_cndmask_b32_e32 v10, v10, v30, vcc
	v_mul_f64 v[30:31], v[10:11], s[88:89]
	v_rndne_f64_e32 v[30:31], v[30:31]
	v_add_f64 v[28:29], v[28:29], -v[36:37]
	v_fma_f64 v[36:37], s[90:91], v[30:31], v[10:11]
	v_fmac_f64_e32 v[36:37], s[92:93], v[30:31]
	v_fmac_f64_e32 v[20:21], s[94:95], v[36:37]
	v_fma_f64 v[20:21], v[36:37], v[20:21], s[54:55]
	v_fma_f64 v[20:21], v[36:37], v[20:21], s[56:57]
	s_mov_b32 s1, s77
	v_fma_f64 v[20:21], v[36:37], v[20:21], s[58:59]
	v_writelane_b32 v127, s0, 4
	v_fma_f64 v[20:21], v[36:37], v[20:21], s[60:61]
	v_writelane_b32 v127, s1, 5
	s_mov_b32 s1, s85
	v_fma_f64 v[20:21], v[36:37], v[20:21], s[62:63]
	v_writelane_b32 v127, s0, 6
	v_fma_f64 v[20:21], v[36:37], v[20:21], s[64:65]
	v_writelane_b32 v127, s1, 7
	s_mov_b32 s1, s91
	v_fma_f64 v[20:21], v[36:37], v[20:21], s[66:67]
	v_writelane_b32 v127, s0, 8
	v_fma_f64 v[20:21], v[36:37], v[20:21], s[68:69]
	v_cmp_neq_f64_e64 vcc, |v[10:11]|, s[34:35]
	v_writelane_b32 v127, s1, 9
	s_mov_b32 s1, s93
	v_fma_f64 v[20:21], v[36:37], v[20:21], 1.0
	v_cndmask_b32_e32 v29, 0, v29, vcc
	v_cndmask_b32_e32 v28, 0, v28, vcc
	v_writelane_b32 v127, s0, 10
	v_fma_f64 v[20:21], v[36:37], v[20:21], 1.0
	v_cvt_i32_f64_e32 v9, v[30:31]
	v_cmp_lt_f64_e32 vcc, s[22:23], v[10:11]
	v_writelane_b32 v127, s1, 11
	v_ldexp_f64 v[20:21], v[20:21], v9
	s_and_b64 s[0:1], vcc, exec
	v_readfirstlane_b32 s7, v20
	v_cmp_ngt_f64_e64 s[0:1], s[40:41], v[10:11]
	s_cselect_b32 s38, 0, s7
	s_and_b64 s[4:5], s[0:1], exec
	v_cndmask_b32_e32 v9, v21, v60, vcc
	s_cselect_b32 s38, s38, 0
	v_and_b32_e32 v21, 0x7fffffff, v21
	v_mov_b32_e32 v20, s7
	v_cndmask_b32_e64 v11, 0, v9, s[0:1]
	v_mov_b32_e32 v10, s38
	v_cmp_eq_f64_e64 s[4:5], s[34:35], v[20:21]
	v_pk_mov_b32 v[30:31], v[10:11], v[10:11] op_sel:[0,1]
	s_or_b64 s[4:5], vcc, s[4:5]
	v_fmac_f64_e32 v[30:31], v[30:31], v[28:29]
	s_and_b64 vcc, s[0:1], s[4:5]
	v_cndmask_b32_e32 v9, v31, v11, vcc
	v_trunc_f64_e32 v[10:11], s[70:71]
	s_and_b64 s[0:1], vcc, exec
	v_cmp_eq_f64_e32 vcc, s[70:71], v[10:11]
	v_mul_f64 v[10:11], s[70:71], 0.5
	v_trunc_f64_e32 v[20:21], v[10:11]
	v_readfirstlane_b32 s4, v30
	v_cmp_neq_f64_e64 s[0:1], v[20:21], v[10:11]
	s_cselect_b32 s7, s38, s4
	s_and_b64 s[0:1], vcc, s[0:1]
	v_cndmask_b32_e64 v10, v61, v25, s[0:1]
	v_bfi_b32 v9, s73, v9, v10
	v_cmp_gt_f64_e64 s[4:5], 0, v[24:25]
	v_cndmask_b32_e32 v10, v126, v9, vcc
	s_and_b64 s[38:39], vcc, exec
	s_cselect_b32 s40, s7, 0
	s_and_b64 s[38:39], s[4:5], exec
	v_cndmask_b32_e64 v9, v9, v10, s[4:5]
	v_cmp_class_f64_e64 s[4:5], v[24:25], s37
	v_cmp_eq_f64_e32 vcc, 0, v[24:25]
	s_cselect_b32 s7, s40, s7
	s_or_b64 s[4:5], vcc, s[4:5]
	s_and_b64 s[38:39], vcc, exec
	s_cselect_b32 s38, 0, 0x7ff00000
	v_cndmask_b32_e64 v10, 0, v25, s[0:1]
	v_mov_b32_e32 v11, s38
	v_bfi_b32 v10, s73, v11, v10
	s_and_b64 s[0:1], s[4:5], exec
	v_cmp_o_f64_e32 vcc, v[24:25], v[24:25]
	v_cndmask_b32_e64 v9, v9, v10, s[4:5]
	s_cselect_b32 s4, 0, s7
	s_and_b64 s[0:1], vcc, exec
	s_cselect_b32 s0, s4, 0
	v_mov_b32_e32 v10, s0
	s_mov_b32 s0, 0
	v_cndmask_b32_e32 v11, v126, v9, vcc
	s_mov_b32 s1, 0x40080000
	v_add_f64 v[10:11], v[10:11], v[22:23]
	v_pk_mov_b32 v[20:21], s[0:1], s[0:1] op_sel:[0,1]
	v_mul_f64 v[20:21], s[12:13], v[20:21]
	v_mul_f64 v[22:23], v[10:11], v[10:11]
	s_mov_b32 s6, 0
	v_fmac_f64_e32 v[22:23], s[12:13], v[20:21]
	s_brev_b32 s7, 8
	v_cmp_gt_f64_e32 vcc, s[6:7], v[22:23]
	v_cndmask_b32_e64 v9, 0, 1, vcc
	v_lshlrev_b32_e32 v9, 8, v9
	v_ldexp_f64 v[20:21], v[22:23], v9
	v_rsq_f64_e32 v[22:23], v[20:21]
	s_and_b64 s[4:5], vcc, exec
	s_cselect_b32 s4, 0xffffff80, 0
	v_cmp_class_f64_e32 vcc, v[20:21], v92
	v_mul_f64 v[24:25], v[20:21], v[22:23]
	v_mul_f64 v[22:23], v[22:23], 0.5
	v_fma_f64 v[28:29], -v[22:23], v[24:25], 0.5
	v_fmac_f64_e32 v[24:25], v[24:25], v[28:29]
	v_fma_f64 v[30:31], -v[24:25], v[24:25], v[20:21]
	v_fmac_f64_e32 v[22:23], v[22:23], v[28:29]
	v_fmac_f64_e32 v[24:25], v[30:31], v[22:23]
	v_fma_f64 v[28:29], -v[24:25], v[24:25], v[20:21]
	v_fmac_f64_e32 v[24:25], v[28:29], v[22:23]
	v_ldexp_f64 v[22:23], v[24:25], s4
	v_cndmask_b32_e32 v21, v23, v21, vcc
	v_cndmask_b32_e32 v20, v22, v20, vcc
	v_add_f64 v[24:25], -v[10:11], s[0:1]
	v_add_f64 v[10:11], v[10:11], s[0:1]
	v_fmac_f64_e32 v[10:11], 2.0, v[20:21]
	v_mul_f64 v[10:11], v[24:25], v[10:11]
	v_cmp_gt_f64_e32 vcc, s[6:7], v[10:11]
	v_cndmask_b32_e64 v9, 0, 1, vcc
	v_lshlrev_b32_e32 v9, 8, v9
	v_ldexp_f64 v[10:11], v[10:11], v9
	v_add_f64 v[22:23], v[20:21], s[0:1]
	v_rsq_f64_e32 v[20:21], v[10:11]
	s_and_b64 s[0:1], vcc, exec
	s_cselect_b32 s0, 0xffffff80, 0
	v_cmp_class_f64_e32 vcc, v[10:11], v92
	v_mul_f64 v[24:25], v[10:11], v[20:21]
	v_mul_f64 v[20:21], v[20:21], 0.5
	v_fma_f64 v[28:29], -v[20:21], v[24:25], 0.5
	v_fmac_f64_e32 v[24:25], v[24:25], v[28:29]
	v_fma_f64 v[30:31], -v[24:25], v[24:25], v[10:11]
	v_fmac_f64_e32 v[20:21], v[20:21], v[28:29]
	v_fmac_f64_e32 v[24:25], v[30:31], v[20:21]
	v_fma_f64 v[28:29], -v[24:25], v[24:25], v[10:11]
	v_fmac_f64_e32 v[24:25], v[28:29], v[20:21]
	v_ldexp_f64 v[20:21], v[24:25], s0
	v_cndmask_b32_e32 v11, v21, v11, vcc
	v_cndmask_b32_e32 v10, v20, v10, vcc
	v_add_f64 v[10:11], v[22:23], -v[10:11]
	v_cvt_f32_f64_e32 v9, v[10:11]
	v_cvt_f64_f32_e32 v[10:11], v9
	buffer_store_dword v10, off, s[96:99], 0 offset:200 ; 4-byte Folded Spill
	s_nop 0
	buffer_store_dword v11, off, s[96:99], 0 offset:204 ; 4-byte Folded Spill
	v_mul_f64 v[10:11], v[38:39], v[38:39]
	v_mul_f64 v[20:21], v[10:11], 0.5
	v_fma_f64 v[26:27], s[8:9], v[10:11], v[26:27]
	v_add_f64 v[22:23], -v[20:21], 1.0
	v_fma_f64 v[26:27], v[10:11], v[26:27], s[10:11]
	v_add_f64 v[24:25], -v[22:23], 1.0
	v_fma_f64 v[26:27], v[10:11], v[26:27], s[14:15]
	v_add_f64 v[20:21], v[24:25], -v[20:21]
	v_fma_f64 v[26:27], v[10:11], v[26:27], s[16:17]
	v_mul_f64 v[24:25], v[10:11], v[10:11]
	v_fma_f64 v[26:27], v[10:11], v[26:27], s[18:19]
	v_fma_f64 v[20:21], v[38:39], -v[42:43], v[20:21]
	v_fmac_f64_e32 v[20:21], v[24:25], v[26:27]
	v_add_f64 v[20:21], v[22:23], v[20:21]
	v_fma_f64 v[22:23], s[24:25], v[10:11], v[32:33]
	v_fma_f64 v[22:23], v[10:11], v[22:23], s[26:27]
	;; [unrolled: 1-line block ×4, first 2 shown]
	v_mul_f64 v[24:25], v[38:39], -v[10:11]
	v_mul_f64 v[26:27], v[42:43], 0.5
	v_fmac_f64_e32 v[26:27], v[24:25], v[22:23]
	v_fma_f64 v[10:11], v[10:11], v[26:27], -v[42:43]
	v_fmac_f64_e32 v[10:11], s[20:21], v[24:25]
	v_and_b32_e32 v9, 1, v84
	v_add_f64 v[10:11], v[38:39], -v[10:11]
	v_cmp_eq_u32_e32 vcc, 0, v9
	v_fmac_f64_e32 v[50:51], -2.0, v[2:3]
	v_cndmask_b32_e32 v9, v20, v10, vcc
	v_cndmask_b32_e32 v10, v21, v11, vcc
	v_add_f64 v[26:27], v[6:7], v[50:51]
	v_mul_f64 v[20:21], v[12:13], v[0:1]
	v_div_scale_f64 v[24:25], s[0:1], v[26:27], v[26:27], v[20:21]
	v_rcp_f64_e32 v[28:29], v[24:25]
	v_mul_f64 v[0:1], v[0:1], v[0:1]
	v_lshlrev_b32_e32 v11, 30, v84
	v_xor_b32_e32 v11, v11, v5
	v_fma_f64 v[30:31], -v[24:25], v[28:29], 1.0
	v_fmac_f64_e32 v[28:29], v[28:29], v[30:31]
	v_fma_f64 v[30:31], -v[24:25], v[28:29], 1.0
	v_fmac_f64_e32 v[28:29], v[28:29], v[30:31]
	v_div_scale_f64 v[30:31], vcc, v[20:21], v[26:27], v[20:21]
	v_mul_f64 v[32:33], v[30:31], v[28:29]
	v_fma_f64 v[24:25], -v[24:25], v[32:33], v[30:31]
	v_and_b32_e32 v11, 0x80000000, v11
	s_nop 0
	v_div_fmas_f64 v[24:25], v[24:25], v[28:29], v[32:33]
	v_div_scale_f64 v[28:29], s[0:1], v[26:27], v[26:27], v[0:1]
	v_rcp_f64_e32 v[30:31], v[28:29]
	v_xor_b32_e32 v11, v10, v11
	v_cndmask_b32_e64 v10, 0, v9, s[2:3]
	v_cndmask_b32_e64 v11, v126, v11, s[2:3]
	v_fma_f64 v[32:33], -v[28:29], v[30:31], 1.0
	v_fmac_f64_e32 v[30:31], v[30:31], v[32:33]
	v_fma_f64 v[32:33], -v[28:29], v[30:31], 1.0
	v_fmac_f64_e32 v[30:31], v[30:31], v[32:33]
	v_div_scale_f64 v[32:33], vcc, v[0:1], v[26:27], v[0:1]
	v_mul_f64 v[36:37], v[32:33], v[30:31]
	v_fma_f64 v[28:29], -v[28:29], v[36:37], v[32:33]
	v_mul_f64 v[10:11], v[10:11], v[10:11]
	s_nop 0
	v_div_fmas_f64 v[28:29], v[28:29], v[30:31], v[36:37]
	v_div_fixup_f64 v[0:1], v[28:29], v[26:27], v[0:1]
	v_div_fixup_f64 v[20:21], v[24:25], v[26:27], v[20:21]
	v_mul_f64 v[24:25], v[12:13], v[18:19]
	v_fmac_f64_e32 v[0:1], v[18:19], v[18:19]
	v_mul_f64 v[18:19], v[26:27], v[10:11]
	v_mul_f64 v[18:19], v[34:35], v[18:19]
	s_mov_b32 s4, 0
	v_fma_f64 v[22:23], -2.0, v[2:3], v[12:13]
	v_mul_f64 v[18:19], v[34:35], v[18:19]
	s_brev_b32 s5, 8
	v_fmac_f64_e32 v[18:19], v[22:23], v[0:1]
	v_cmp_gt_f64_e32 vcc, s[4:5], v[18:19]
	v_cndmask_b32_e64 v0, 0, 1, vcc
	v_lshlrev_b32_e32 v0, 8, v0
	v_ldexp_f64 v[0:1], v[18:19], v0
	v_rsq_f64_e32 v[18:19], v[0:1]
	v_cndmask_b32_e32 v9, 0, v91, vcc
	v_cmp_class_f64_e32 vcc, v[0:1], v92
	v_mul_f64 v[12:13], v[26:27], v[12:13]
	v_mul_f64 v[28:29], v[0:1], v[18:19]
	v_mul_f64 v[18:19], v[18:19], 0.5
	v_fma_f64 v[30:31], -v[18:19], v[28:29], 0.5
	v_fmac_f64_e32 v[28:29], v[28:29], v[30:31]
	v_fma_f64 v[32:33], -v[28:29], v[28:29], v[0:1]
	v_fmac_f64_e32 v[18:19], v[18:19], v[30:31]
	v_fmac_f64_e32 v[28:29], v[32:33], v[18:19]
	v_fma_f64 v[30:31], -v[28:29], v[28:29], v[0:1]
	v_fmac_f64_e32 v[28:29], v[30:31], v[18:19]
	v_ldexp_f64 v[18:19], v[28:29], v9
	v_cndmask_b32_e32 v1, v19, v1, vcc
	v_cndmask_b32_e32 v0, v18, v0, vcc
	v_div_scale_f64 v[18:19], s[0:1], v[0:1], v[0:1], v[20:21]
	v_rcp_f64_e32 v[28:29], v[18:19]
	v_mov_b32_e32 v8, 0
	v_mov_b32_e32 v120, 0
	s_mov_b32 s4, 0
	v_fma_f64 v[30:31], -v[18:19], v[28:29], 1.0
	v_fmac_f64_e32 v[28:29], v[28:29], v[30:31]
	v_fma_f64 v[30:31], -v[18:19], v[28:29], 1.0
	v_fmac_f64_e32 v[28:29], v[28:29], v[30:31]
	v_div_scale_f64 v[30:31], vcc, v[20:21], v[0:1], v[20:21]
	v_mul_f64 v[32:33], v[30:31], v[28:29]
	v_fma_f64 v[18:19], -v[18:19], v[32:33], v[30:31]
	s_mov_b32 s64, 0
	s_nop 0
	v_div_fmas_f64 v[18:19], v[18:19], v[28:29], v[32:33]
	v_div_fixup_f64 v[20:21], v[18:19], v[0:1], v[20:21]
	v_div_scale_f64 v[18:19], s[0:1], v[0:1], v[0:1], v[24:25]
	v_rcp_f64_e32 v[28:29], v[18:19]
	s_mov_b32 s68, 0x54442d18
	s_mov_b32 s74, 0x6dc9c883
	;; [unrolled: 1-line block ×3, first 2 shown]
	v_fma_f64 v[30:31], -v[18:19], v[28:29], 1.0
	v_fmac_f64_e32 v[28:29], v[28:29], v[30:31]
	v_fma_f64 v[30:31], -v[18:19], v[28:29], 1.0
	v_fmac_f64_e32 v[28:29], v[28:29], v[30:31]
	v_div_scale_f64 v[30:31], vcc, v[24:25], v[0:1], v[24:25]
	v_mul_f64 v[32:33], v[30:31], v[28:29]
	v_fma_f64 v[18:19], -v[18:19], v[32:33], v[30:31]
	s_mov_b32 s78, 0x252049c0
	s_nop 0
	v_div_fmas_f64 v[18:19], v[18:19], v[28:29], v[32:33]
	buffer_load_dword v32, off, s[96:99], 0 offset:352 ; 4-byte Folded Reload
	buffer_load_dword v33, off, s[96:99], 0 offset:356 ; 4-byte Folded Reload
	v_div_fixup_f64 v[24:25], v[18:19], v[0:1], v[24:25]
	s_mov_b32 s80, 0xe2308c3a
	s_mov_b32 s84, 0x9999999a
	;; [unrolled: 1-line block ×14, first 2 shown]
	s_movk_i32 s33, 0xff80
	v_mov_b32_e32 v121, 0x3fe00000
	v_mov_b32_e32 v104, 0x3ff00000
	s_mov_b32 s5, 0x41d00000
	s_mov_b32 s65, 0x7b000000
	;; [unrolled: 1-line block ×28, first 2 shown]
	v_mov_b32_e32 v106, 0x3c9cd2b2
	v_mov_b32_e32 v110, 0x97d889bc
	;; [unrolled: 1-line block ×4, first 2 shown]
                                        ; implicit-def: $sgpr2_sgpr3
	s_waitcnt vmcnt(0)
	v_mul_f64 v[18:19], v[32:33], v[2:3]
	v_mul_f64 v[18:19], v[18:19], v[0:1]
	v_fma_f64 v[12:13], v[12:13], v[34:35], -v[18:19]
	v_mul_f64 v[12:13], v[10:11], v[12:13]
	v_div_scale_f64 v[18:19], s[0:1], v[22:23], v[22:23], v[12:13]
	v_rcp_f64_e32 v[26:27], v[18:19]
	v_fma_f64 v[28:29], -v[18:19], v[26:27], 1.0
	v_fmac_f64_e32 v[26:27], v[26:27], v[28:29]
	v_fma_f64 v[28:29], -v[18:19], v[26:27], 1.0
	v_fmac_f64_e32 v[26:27], v[26:27], v[28:29]
	v_div_scale_f64 v[28:29], vcc, v[12:13], v[22:23], v[12:13]
	v_mul_f64 v[30:31], v[28:29], v[26:27]
	v_fma_f64 v[18:19], -v[18:19], v[30:31], v[28:29]
	s_nop 1
	v_div_fmas_f64 v[18:19], v[18:19], v[26:27], v[30:31]
	v_div_fixup_f64 v[12:13], v[18:19], v[22:23], v[12:13]
	v_div_scale_f64 v[18:19], s[0:1], v[0:1], v[0:1], v[12:13]
	v_rcp_f64_e32 v[22:23], v[18:19]
	v_fma_f64 v[26:27], -v[18:19], v[22:23], 1.0
	v_fmac_f64_e32 v[22:23], v[22:23], v[26:27]
	v_fma_f64 v[26:27], -v[18:19], v[22:23], 1.0
	v_fmac_f64_e32 v[22:23], v[22:23], v[26:27]
	v_div_scale_f64 v[26:27], vcc, v[12:13], v[0:1], v[12:13]
	v_mul_f64 v[28:29], v[26:27], v[22:23]
	v_fma_f64 v[18:19], -v[18:19], v[28:29], v[26:27]
	s_nop 1
	v_div_fmas_f64 v[18:19], v[18:19], v[22:23], v[28:29]
	v_div_fixup_f64 v[22:23], v[18:19], v[0:1], v[12:13]
	v_mul_f64 v[26:27], v[22:23], v[22:23]
	v_div_scale_f64 v[12:13], s[0:1], v[10:11], v[10:11], v[26:27]
	v_rcp_f64_e32 v[18:19], v[12:13]
	v_mul_f64 v[0:1], v[24:25], v[24:25]
	v_fmac_f64_e32 v[0:1], v[6:7], v[10:11]
	v_readlane_b32 s0, v127, 0
	v_fma_f64 v[28:29], -v[12:13], v[18:19], 1.0
	v_fmac_f64_e32 v[18:19], v[18:19], v[28:29]
	v_fma_f64 v[28:29], -v[12:13], v[18:19], 1.0
	v_fmac_f64_e32 v[18:19], v[18:19], v[28:29]
	v_div_scale_f64 v[28:29], vcc, v[26:27], v[10:11], v[26:27]
	v_mul_f64 v[30:31], v[28:29], v[18:19]
	v_fma_f64 v[12:13], -v[12:13], v[30:31], v[28:29]
	v_readlane_b32 s1, v127, 1
	s_nop 0
	v_div_fmas_f64 v[12:13], v[12:13], v[18:19], v[30:31]
	v_div_fixup_f64 v[10:11], v[12:13], v[10:11], v[26:27]
	v_add_f64 v[108:109], v[0:1], v[10:11]
	v_lshl_add_u32 v0, v79, 10, v78
	v_lshl_add_u32 v0, v0, 1, v0
	v_mov_b32_e32 v1, v8
	v_lshlrev_b64 v[10:11], 3, v[0:1]
	v_add_co_u32_e32 v10, vcc, s0, v10
	v_mov_b32_e32 v9, s1
	v_addc_co_u32_e32 v11, vcc, v9, v11, vcc
	global_store_dwordx2 v[10:11], v[16:17], off
	v_add_u32_e32 v10, 1, v0
	v_mov_b32_e32 v11, v8
	v_lshlrev_b64 v[10:11], 3, v[10:11]
	v_add_co_u32_e32 v10, vcc, s0, v10
	v_add_u32_e32 v0, 2, v0
	v_addc_co_u32_e32 v11, vcc, v9, v11, vcc
	v_lshlrev_b64 v[0:1], 3, v[0:1]
	v_add_co_u32_e32 v0, vcc, s0, v0
	v_addc_co_u32_e32 v1, vcc, v9, v1, vcc
	global_store_dwordx2 v[10:11], v[14:15], off
	buffer_store_dword v0, off, s[96:99], 0 offset:360 ; 4-byte Folded Spill
	s_nop 0
	buffer_store_dword v1, off, s[96:99], 0 offset:364 ; 4-byte Folded Spill
	v_mov_b32_e32 v9, v8
	s_mov_b32 s1, 0x3feccccc
	v_writelane_b32 v127, s0, 12
	v_writelane_b32 v127, s1, 13
	s_mov_b32 s1, 0x3fb99999
	v_writelane_b32 v127, s0, 14
	v_writelane_b32 v127, s1, 15
	;; [unrolled: 3-line block ×3, first 2 shown]
                                        ; implicit-def: $sgpr0_sgpr1
                                        ; kill: killed $sgpr0_sgpr1
	global_store_dwordx2 v[0:1], v[8:9], off
	v_pk_mov_b32 v[0:1], 0, 0
	buffer_store_dword v22, off, s[96:99], 0 offset:16 ; 4-byte Folded Spill
	s_nop 0
	buffer_store_dword v23, off, s[96:99], 0 offset:20 ; 4-byte Folded Spill
	buffer_store_dword v0, off, s[96:99], 0 offset:192 ; 4-byte Folded Spill
	s_nop 0
	buffer_store_dword v1, off, s[96:99], 0 offset:196 ; 4-byte Folded Spill
	v_mov_b32_e32 v0, 0x9037ab78
	v_mov_b32_e32 v1, 0x3e21eeb6
	buffer_store_dword v0, off, s[96:99], 0 offset:128 ; 4-byte Folded Spill
	s_nop 0
	buffer_store_dword v1, off, s[96:99], 0 offset:132 ; 4-byte Folded Spill
	v_mov_b32_e32 v0, 0xa17f65f6
	v_mov_b32_e32 v1, 0xbe927e4f
	;; [unrolled: 5-line block ×22, first 2 shown]
	buffer_store_dword v0, off, s[96:99], 0 offset:328 ; 4-byte Folded Spill
	s_nop 0
	buffer_store_dword v1, off, s[96:99], 0 offset:332 ; 4-byte Folded Spill
	v_mov_b32_e32 v0, 0x11122322
	buffer_store_dword v0, off, s[96:99], 0 offset:208 ; 4-byte Folded Spill
	s_nop 0
	buffer_store_dword v1, off, s[96:99], 0 offset:212 ; 4-byte Folded Spill
	v_mov_b32_e32 v0, 0x555502a1
	buffer_store_dword v0, off, s[96:99], 0 offset:216 ; 4-byte Folded Spill
	s_nop 0
	buffer_store_dword v1, off, s[96:99], 0 offset:220 ; 4-byte Folded Spill
	v_mov_b32_e32 v0, 0x55555511
	v_mov_b32_e32 v1, 0x3fc55555
	buffer_store_dword v0, off, s[96:99], 0 offset:336 ; 4-byte Folded Spill
	s_nop 0
	buffer_store_dword v1, off, s[96:99], 0 offset:340 ; 4-byte Folded Spill
	v_mul_f64 v[102:103], v[32:33], v[22:23]
	v_mov_b32_e32 v0, 11
	v_mov_b32_e32 v1, 0x3fe00000
	buffer_store_dword v0, off, s[96:99], 0 offset:344 ; 4-byte Folded Spill
	s_nop 0
	buffer_store_dword v1, off, s[96:99], 0 offset:348 ; 4-byte Folded Spill
	s_branch .LBB0_78
.LBB0_77:                               ;   in Loop: Header=BB0_78 Depth=1
	s_or_b64 exec, exec, s[2:3]
	v_readlane_b32 s6, v127, 2
	s_and_b64 s[0:1], exec, s[0:1]
	v_readlane_b32 s7, v127, 3
	s_or_b64 s[6:7], s[0:1], s[6:7]
	v_readlane_b32 s0, v127, 18
	v_readlane_b32 s1, v127, 19
	v_writelane_b32 v127, s62, 20
	v_writelane_b32 v127, s63, 21
	s_andn2_b64 s[0:1], s[0:1], exec
	s_and_b64 s[2:3], s[62:63], exec
	v_writelane_b32 v127, s6, 2
	s_or_b64 s[2:3], s[0:1], s[2:3]
	v_pk_mov_b32 v[4:5], v[32:33], v[32:33] op_sel:[0,1]
	v_writelane_b32 v127, s7, 3
	s_andn2_b64 exec, exec, s[6:7]
	s_cbranch_execz .LBB0_146
.LBB0_78:                               ; =>This Loop Header: Depth=1
                                        ;     Child Loop BB0_90 Depth 2
	v_writelane_b32 v127, s2, 18
	v_writelane_b32 v127, s3, 19
	v_cmp_nlt_f64_e64 s[2:3], |v[4:5]|, s[4:5]
	v_trig_preop_f64 v[18:19], |v[4:5]|, 0
	v_trig_preop_f64 v[14:15], |v[4:5]|, 1
	v_ldexp_f64 v[30:31], |v[4:5]|, s33
	v_trig_preop_f64 v[12:13], |v[4:5]|, 2
	buffer_store_dword v4, off, s[96:99], 0 ; 4-byte Folded Spill
	s_nop 0
	buffer_store_dword v5, off, s[96:99], 0 offset:4 ; 4-byte Folded Spill
                                        ; implicit-def: $vgpr36
                                        ; implicit-def: $vgpr0_vgpr1
                                        ; implicit-def: $vgpr10_vgpr11
	v_and_b32_e32 v37, 0x7fffffff, v5
	s_and_saveexec_b64 s[0:1], s[2:3]
	s_xor_b64 s[6:7], exec, s[0:1]
	s_cbranch_execz .LBB0_80
; %bb.79:                               ;   in Loop: Header=BB0_78 Depth=1
	buffer_load_dword v0, off, s[96:99], 0  ; 4-byte Folded Reload
	buffer_load_dword v1, off, s[96:99], 0 offset:4 ; 4-byte Folded Reload
	v_mov_b32_e32 v4, 0x40100000
	s_mov_b32 s66, s68
	s_mov_b32 s73, s71
	s_waitcnt vmcnt(0)
	v_cmp_ge_f64_e64 vcc, |v[0:1]|, s[64:65]
	v_cndmask_b32_e32 v1, v37, v31, vcc
	v_cndmask_b32_e32 v0, v0, v30, vcc
	v_mul_f64 v[32:33], v[18:19], v[0:1]
	v_mul_f64 v[10:11], v[14:15], v[0:1]
	v_fma_f64 v[34:35], v[18:19], v[0:1], -v[32:33]
	v_add_f64 v[38:39], v[10:11], v[34:35]
	v_add_f64 v[42:43], v[32:33], v[38:39]
	v_ldexp_f64 v[44:45], v[42:43], -2
	v_fract_f64_e32 v[46:47], v[44:45]
	v_cmp_neq_f64_e64 vcc, |v[44:45]|, s[34:35]
	v_cndmask_b32_e32 v45, 0, v47, vcc
	v_cndmask_b32_e32 v44, 0, v46, vcc
	v_add_f64 v[46:47], v[38:39], -v[10:11]
	v_add_f64 v[34:35], v[34:35], -v[46:47]
	;; [unrolled: 1-line block ×4, first 2 shown]
	v_add_f64 v[34:35], v[34:35], v[46:47]
	v_fma_f64 v[10:11], v[14:15], v[0:1], -v[10:11]
	v_mul_f64 v[46:47], v[12:13], v[0:1]
	v_add_f64 v[50:51], v[46:47], v[10:11]
	v_add_f64 v[52:53], v[50:51], v[34:35]
	v_add_f64 v[32:33], v[42:43], -v[32:33]
	v_add_f64 v[42:43], v[52:53], -v[50:51]
	;; [unrolled: 1-line block ×5, first 2 shown]
	v_add_f64 v[34:35], v[34:35], v[42:43]
	v_add_f64 v[42:43], v[50:51], -v[46:47]
	v_add_f64 v[10:11], v[10:11], -v[42:43]
	v_add_f64 v[42:43], v[50:51], -v[42:43]
	v_add_f64 v[32:33], v[38:39], -v[32:33]
	v_add_f64 v[42:43], v[46:47], -v[42:43]
	v_add_f64 v[38:39], v[32:33], v[52:53]
	v_add_f64 v[10:11], v[10:11], v[42:43]
	v_add_f64 v[32:33], v[38:39], -v[32:33]
	v_add_f64 v[10:11], v[10:11], v[34:35]
	v_fma_f64 v[0:1], v[12:13], v[0:1], -v[46:47]
	v_add_f64 v[32:33], v[52:53], -v[32:33]
	v_add_f64 v[0:1], v[0:1], v[10:11]
	v_ldexp_f64 v[10:11], v[44:45], 2
	v_add_f64 v[0:1], v[32:33], v[0:1]
	v_add_f64 v[32:33], v[38:39], v[10:11]
	v_cmp_gt_f64_e32 vcc, 0, v[32:33]
	v_cndmask_b32_e32 v9, 0, v4, vcc
	v_add_f64 v[10:11], v[10:11], v[8:9]
	v_add_f64 v[32:33], v[38:39], v[10:11]
	v_cvt_i32_f64_e32 v9, v[32:33]
	v_cvt_f64_i32_e32 v[32:33], v9
	v_add_f64 v[10:11], v[10:11], -v[32:33]
	v_add_f64 v[32:33], v[38:39], v[10:11]
	v_add_f64 v[10:11], v[32:33], -v[10:11]
	v_cmp_le_f64_e32 vcc, 0.5, v[32:33]
	v_add_f64 v[10:11], v[38:39], -v[10:11]
	v_addc_co_u32_e64 v36, s[0:1], 0, v9, vcc
	v_cndmask_b32_e32 v9, 0, v104, vcc
	v_add_f64 v[0:1], v[0:1], v[10:11]
	v_add_f64 v[10:11], v[32:33], -v[8:9]
	v_add_f64 v[32:33], v[10:11], v[0:1]
	v_add_f64 v[10:11], v[32:33], -v[10:11]
	v_add_f64 v[0:1], v[0:1], -v[10:11]
	v_mul_f64 v[10:11], v[32:33], s[66:67]
	v_fma_f64 v[34:35], v[32:33], s[66:67], -v[10:11]
	v_fmac_f64_e32 v[34:35], s[72:73], v[32:33]
	v_fmac_f64_e32 v[34:35], s[66:67], v[0:1]
	v_add_f64 v[0:1], v[10:11], v[34:35]
	v_add_f64 v[10:11], v[0:1], -v[10:11]
	v_add_f64 v[10:11], v[34:35], -v[10:11]
	s_andn2_saveexec_b64 s[0:1], s[6:7]
	s_cbranch_execz .LBB0_82
	s_branch .LBB0_81
.LBB0_80:                               ;   in Loop: Header=BB0_78 Depth=1
	s_andn2_saveexec_b64 s[0:1], s[6:7]
	s_cbranch_execz .LBB0_82
.LBB0_81:                               ;   in Loop: Header=BB0_78 Depth=1
	buffer_load_dword v4, off, s[96:99], 0  ; 4-byte Folded Reload
	buffer_load_dword v5, off, s[96:99], 0 offset:4 ; 4-byte Folded Reload
	s_mov_b32 s70, s76
	s_waitcnt vmcnt(0)
	v_mul_f64 v[0:1], |v[4:5]|, s[74:75]
	v_rndne_f64_e32 v[32:33], v[0:1]
	v_fma_f64 v[0:1], v[32:33], s[68:69], |v[4:5]|
	v_mul_f64 v[34:35], v[32:33], s[76:77]
	v_add_f64 v[42:43], v[0:1], v[34:35]
	v_fma_f64 v[10:11], s[76:77], v[32:33], v[0:1]
	v_add_f64 v[0:1], v[0:1], -v[42:43]
	v_fma_f64 v[38:39], s[70:71], v[32:33], v[34:35]
	v_add_f64 v[0:1], v[0:1], v[34:35]
	v_add_f64 v[34:35], v[42:43], -v[10:11]
	v_add_f64 v[0:1], v[34:35], v[0:1]
	v_add_f64 v[34:35], v[0:1], -v[38:39]
	v_fmac_f64_e32 v[34:35], s[78:79], v[32:33]
	v_add_f64 v[0:1], v[10:11], v[34:35]
	v_add_f64 v[10:11], v[0:1], -v[10:11]
	v_add_f64 v[10:11], v[34:35], -v[10:11]
	v_cvt_i32_f64_e32 v36, v[32:33]
.LBB0_82:                               ;   in Loop: Header=BB0_78 Depth=1
	s_or_b64 exec, exec, s[0:1]
                                        ; implicit-def: $vgpr38
                                        ; implicit-def: $vgpr32_vgpr33
                                        ; implicit-def: $vgpr34_vgpr35
	s_and_saveexec_b64 s[0:1], s[2:3]
	s_xor_b64 s[2:3], exec, s[0:1]
	s_cbranch_execz .LBB0_84
; %bb.83:                               ;   in Loop: Header=BB0_78 Depth=1
	buffer_load_dword v4, off, s[96:99], 0  ; 4-byte Folded Reload
	buffer_load_dword v5, off, s[96:99], 0 offset:4 ; 4-byte Folded Reload
	s_mov_b32 s66, s68
	s_mov_b32 s73, s71
	s_waitcnt vmcnt(0)
	v_cmp_ge_f64_e64 vcc, |v[4:5]|, s[64:65]
	v_cndmask_b32_e32 v31, v37, v31, vcc
	v_cndmask_b32_e32 v30, v4, v30, vcc
	v_mul_f64 v[34:35], v[18:19], v[30:31]
	v_mul_f64 v[32:33], v[14:15], v[30:31]
	v_fma_f64 v[18:19], v[18:19], v[30:31], -v[34:35]
	v_add_f64 v[38:39], v[32:33], v[18:19]
	v_add_f64 v[42:43], v[34:35], v[38:39]
	v_ldexp_f64 v[44:45], v[42:43], -2
	v_fract_f64_e32 v[46:47], v[44:45]
	v_cmp_neq_f64_e64 vcc, |v[44:45]|, s[34:35]
	v_cndmask_b32_e32 v45, 0, v47, vcc
	v_cndmask_b32_e32 v44, 0, v46, vcc
	v_add_f64 v[46:47], v[38:39], -v[32:33]
	v_add_f64 v[18:19], v[18:19], -v[46:47]
	;; [unrolled: 1-line block ×4, first 2 shown]
	v_fma_f64 v[14:15], v[14:15], v[30:31], -v[32:33]
	v_mul_f64 v[32:33], v[12:13], v[30:31]
	v_add_f64 v[18:19], v[18:19], v[46:47]
	v_add_f64 v[46:47], v[32:33], v[14:15]
	;; [unrolled: 1-line block ×3, first 2 shown]
	v_add_f64 v[34:35], v[42:43], -v[34:35]
	v_add_f64 v[42:43], v[50:51], -v[46:47]
	;; [unrolled: 1-line block ×5, first 2 shown]
	v_add_f64 v[18:19], v[18:19], v[42:43]
	v_add_f64 v[42:43], v[46:47], -v[32:33]
	v_add_f64 v[14:15], v[14:15], -v[42:43]
	;; [unrolled: 1-line block ×4, first 2 shown]
	v_add_f64 v[14:15], v[14:15], v[42:43]
	v_add_f64 v[34:35], v[38:39], -v[34:35]
	v_add_f64 v[14:15], v[14:15], v[18:19]
	v_fma_f64 v[12:13], v[12:13], v[30:31], -v[32:33]
	v_add_f64 v[38:39], v[34:35], v[50:51]
	v_add_f64 v[12:13], v[12:13], v[14:15]
	v_ldexp_f64 v[14:15], v[44:45], 2
	v_add_f64 v[18:19], v[38:39], v[14:15]
	v_cmp_gt_f64_e32 vcc, 0, v[18:19]
	v_mov_b32_e32 v4, 0x40100000
	v_cndmask_b32_e32 v9, 0, v4, vcc
	v_add_f64 v[14:15], v[14:15], v[8:9]
	v_add_f64 v[18:19], v[38:39], v[14:15]
	v_cvt_i32_f64_e32 v9, v[18:19]
	v_cvt_f64_i32_e32 v[18:19], v9
	v_add_f64 v[14:15], v[14:15], -v[18:19]
	v_add_f64 v[34:35], v[38:39], -v[34:35]
	v_add_f64 v[18:19], v[38:39], v[14:15]
	v_add_f64 v[34:35], v[50:51], -v[34:35]
	v_add_f64 v[14:15], v[18:19], -v[14:15]
	v_cmp_le_f64_e32 vcc, 0.5, v[18:19]
	v_add_f64 v[12:13], v[34:35], v[12:13]
	v_add_f64 v[14:15], v[38:39], -v[14:15]
	v_addc_co_u32_e64 v38, s[0:1], 0, v9, vcc
	v_cndmask_b32_e32 v9, 0, v104, vcc
	v_add_f64 v[12:13], v[12:13], v[14:15]
	v_add_f64 v[14:15], v[18:19], -v[8:9]
	v_add_f64 v[18:19], v[14:15], v[12:13]
	v_add_f64 v[14:15], v[18:19], -v[14:15]
	v_add_f64 v[12:13], v[12:13], -v[14:15]
	v_mul_f64 v[14:15], v[18:19], s[66:67]
	v_fma_f64 v[30:31], v[18:19], s[66:67], -v[14:15]
	v_fmac_f64_e32 v[30:31], s[72:73], v[18:19]
	v_fmac_f64_e32 v[30:31], s[66:67], v[12:13]
	v_add_f64 v[32:33], v[14:15], v[30:31]
	v_add_f64 v[12:13], v[32:33], -v[14:15]
	v_add_f64 v[34:35], v[30:31], -v[12:13]
	s_andn2_saveexec_b64 s[0:1], s[2:3]
	s_cbranch_execnz .LBB0_85
	s_branch .LBB0_86
.LBB0_84:                               ;   in Loop: Header=BB0_78 Depth=1
	s_andn2_saveexec_b64 s[0:1], s[2:3]
	s_cbranch_execz .LBB0_86
.LBB0_85:                               ;   in Loop: Header=BB0_78 Depth=1
	buffer_load_dword v4, off, s[96:99], 0  ; 4-byte Folded Reload
	buffer_load_dword v5, off, s[96:99], 0 offset:4 ; 4-byte Folded Reload
	s_mov_b32 s70, s76
	s_waitcnt vmcnt(0)
	v_mul_f64 v[12:13], |v[4:5]|, s[74:75]
	v_rndne_f64_e32 v[12:13], v[12:13]
	v_fma_f64 v[14:15], v[12:13], s[68:69], |v[4:5]|
	v_mul_f64 v[30:31], v[12:13], s[76:77]
	v_add_f64 v[34:35], v[14:15], v[30:31]
	v_fma_f64 v[18:19], s[76:77], v[12:13], v[14:15]
	v_add_f64 v[14:15], v[14:15], -v[34:35]
	v_fma_f64 v[32:33], s[70:71], v[12:13], v[30:31]
	v_add_f64 v[14:15], v[14:15], v[30:31]
	v_add_f64 v[30:31], v[34:35], -v[18:19]
	v_add_f64 v[14:15], v[30:31], v[14:15]
	v_add_f64 v[14:15], v[14:15], -v[32:33]
	v_fmac_f64_e32 v[14:15], s[78:79], v[12:13]
	v_add_f64 v[32:33], v[18:19], v[14:15]
	v_add_f64 v[18:19], v[32:33], -v[18:19]
	v_add_f64 v[34:35], v[14:15], -v[18:19]
	v_cvt_i32_f64_e32 v38, v[12:13]
.LBB0_86:                               ;   in Loop: Header=BB0_78 Depth=1
	s_or_b64 exec, exec, s[0:1]
	buffer_load_dword v4, off, s[96:99], 0  ; 4-byte Folded Reload
	buffer_load_dword v5, off, s[96:99], 0 offset:4 ; 4-byte Folded Reload
	s_mov_b32 s2, 0xb42fdfa7
	s_mov_b32 s3, 0xbe5ae600
	v_mul_f64 v[12:13], v[0:1], v[0:1]
	v_pk_mov_b32 v[18:19], s[2:3], s[2:3] op_sel:[0,1]
	v_fma_f64 v[30:31], s[24:25], v[12:13], v[18:19]
	v_fma_f64 v[30:31], v[12:13], v[30:31], s[26:27]
	v_fma_f64 v[30:31], v[12:13], v[30:31], s[28:29]
	s_mov_b32 s2, 0x9037ab78
	v_mul_f64 v[14:15], v[0:1], -v[12:13]
	v_fma_f64 v[30:31], v[12:13], v[30:31], s[30:31]
	v_mul_f64 v[42:43], v[10:11], 0.5
	s_mov_b32 s3, 0x3e21eeb6
	v_fmac_f64_e32 v[42:43], v[14:15], v[30:31]
	v_pk_mov_b32 v[46:47], s[2:3], s[2:3] op_sel:[0,1]
	v_fma_f64 v[30:31], v[12:13], v[42:43], -v[10:11]
	v_fma_f64 v[50:51], s[8:9], v[12:13], v[46:47]
	v_fmac_f64_e32 v[30:31], s[20:21], v[14:15]
	v_fma_f64 v[50:51], v[12:13], v[50:51], s[10:11]
	v_add_f64 v[14:15], v[0:1], -v[30:31]
	v_mul_f64 v[30:31], v[12:13], 0.5
	v_fma_f64 v[50:51], v[12:13], v[50:51], s[14:15]
	v_add_f64 v[42:43], -v[30:31], 1.0
	v_fma_f64 v[50:51], v[12:13], v[50:51], s[16:17]
	v_mul_f64 v[44:45], v[12:13], v[12:13]
	v_fma_f64 v[12:13], v[12:13], v[50:51], s[18:19]
	v_add_f64 v[50:51], -v[42:43], 1.0
	v_add_f64 v[30:31], v[50:51], -v[30:31]
	v_fma_f64 v[0:1], v[0:1], -v[10:11], v[30:31]
	v_and_b32_e32 v9, 1, v36
	v_fmac_f64_e32 v[0:1], v[44:45], v[12:13]
	v_mul_f64 v[10:11], v[32:33], v[32:33]
	v_cmp_eq_u32_e64 s[0:1], 0, v9
	v_add_f64 v[0:1], v[42:43], v[0:1]
	v_lshlrev_b32_e32 v9, 30, v36
	v_mul_f64 v[12:13], v[10:11], 0.5
	v_fma_f64 v[36:37], s[8:9], v[10:11], v[46:47]
	v_cndmask_b32_e64 v0, v0, v14, s[0:1]
	v_cndmask_b32_e64 v1, v1, v15, s[0:1]
	v_add_f64 v[14:15], -v[12:13], 1.0
	v_fma_f64 v[36:37], v[10:11], v[36:37], s[10:11]
	v_add_f64 v[30:31], -v[14:15], 1.0
	v_fma_f64 v[36:37], v[10:11], v[36:37], s[14:15]
	v_add_f64 v[12:13], v[30:31], -v[12:13]
	v_fma_f64 v[36:37], v[10:11], v[36:37], s[16:17]
	v_mul_f64 v[30:31], v[10:11], v[10:11]
	v_fma_f64 v[36:37], v[10:11], v[36:37], s[18:19]
	v_fma_f64 v[12:13], v[32:33], -v[34:35], v[12:13]
	v_fmac_f64_e32 v[12:13], v[30:31], v[36:37]
	v_add_f64 v[12:13], v[14:15], v[12:13]
	v_fma_f64 v[14:15], s[24:25], v[10:11], v[18:19]
	v_fma_f64 v[14:15], v[10:11], v[14:15], s[26:27]
	;; [unrolled: 1-line block ×4, first 2 shown]
	v_mul_f64 v[18:19], v[32:33], -v[10:11]
	v_mul_f64 v[30:31], v[34:35], 0.5
	v_fmac_f64_e32 v[30:31], v[18:19], v[14:15]
	v_fma_f64 v[10:11], v[10:11], v[30:31], -v[34:35]
	v_fmac_f64_e32 v[10:11], s[20:21], v[18:19]
	v_add_f64 v[10:11], v[32:33], -v[10:11]
	buffer_load_dword v16, off, s[96:99], 0 offset:16 ; 4-byte Folded Reload
	buffer_load_dword v17, off, s[96:99], 0 offset:20 ; 4-byte Folded Reload
	v_add_f64 v[18:19], v[2:3], v[2:3]
	v_fma_f64 v[30:31], v[2:3], v[2:3], -v[18:19]
	v_add_f64 v[30:31], v[6:7], v[30:31]
	s_mov_b64 s[82:83], 0
	s_waitcnt vmcnt(2)
	v_xor_b32_e32 v9, v9, v5
	v_and_b32_e32 v9, 0x80000000, v9
	v_xor_b32_e32 v1, v1, v9
	v_xor_b32_e32 v9, 0x80000000, v11
	v_and_b32_e32 v11, 1, v38
	v_cmp_eq_u32_e64 s[0:1], 0, v11
	v_lshlrev_b32_e32 v11, 30, v38
	v_cndmask_b32_e64 v9, v9, v13, s[0:1]
	v_and_b32_e32 v11, 0x80000000, v11
	v_cmp_class_f64_e64 vcc, v[4:5], s36
	v_cndmask_b32_e64 v10, v10, v12, s[0:1]
	v_xor_b32_e32 v9, v9, v11
	v_cndmask_b32_e32 v12, 0, v10, vcc
	v_cndmask_b32_e32 v13, v126, v9, vcc
	v_mul_f64 v[14:15], v[12:13], v[12:13]
	v_mul_f64 v[14:15], v[6:7], v[14:15]
	v_fmac_f64_e32 v[14:15], v[2:3], v[2:3]
	v_mul_f64 v[32:33], v[30:31], v[14:15]
	v_div_scale_f64 v[34:35], s[2:3], v[32:33], v[32:33], 1.0
	v_rcp_f64_e32 v[36:37], v[34:35]
	v_cndmask_b32_e32 v0, 0, v0, vcc
	v_cndmask_b32_e32 v1, v126, v1, vcc
	v_mul_f64 v[30:31], v[30:31], -v[20:21]
	v_fma_f64 v[38:39], -v[34:35], v[36:37], 1.0
	v_fmac_f64_e32 v[36:37], v[36:37], v[38:39]
	v_fma_f64 v[38:39], -v[34:35], v[36:37], 1.0
	v_fmac_f64_e32 v[36:37], v[36:37], v[38:39]
	v_div_scale_f64 v[38:39], vcc, 1.0, v[32:33], 1.0
	v_mul_f64 v[42:43], v[38:39], v[36:37]
	v_fma_f64 v[34:35], -v[34:35], v[42:43], v[38:39]
	v_mul_f64 v[10:11], v[0:1], v[0:1]
	s_nop 0
	v_div_fmas_f64 v[34:35], v[34:35], v[36:37], v[42:43]
	v_div_fixup_f64 v[32:33], v[34:35], v[32:33], 1.0
	v_div_scale_f64 v[34:35], s[2:3], v[14:15], v[14:15], 1.0
	v_rcp_f64_e32 v[36:37], v[34:35]
	v_cmp_gt_f64_e64 s[0:1], s[80:81], v[0:1]
	v_cndmask_b32_e64 v11, v11, v106, s[0:1]
	v_cndmask_b32_e64 v10, v10, v110, s[0:1]
	v_fma_f64 v[38:39], -v[34:35], v[36:37], 1.0
	v_fmac_f64_e32 v[36:37], v[36:37], v[38:39]
	v_fma_f64 v[38:39], -v[34:35], v[36:37], 1.0
	v_fmac_f64_e32 v[36:37], v[36:37], v[38:39]
	v_div_scale_f64 v[38:39], vcc, 1.0, v[14:15], 1.0
	v_mul_f64 v[42:43], v[38:39], v[36:37]
	v_fma_f64 v[34:35], -v[34:35], v[42:43], v[38:39]
	v_cndmask_b32_e64 v1, v1, v40, s[0:1]
	s_nop 0
	v_div_fmas_f64 v[34:35], v[34:35], v[36:37], v[42:43]
	v_div_fixup_f64 v[34:35], v[34:35], v[14:15], 1.0
	v_mul_f64 v[22:23], v[30:31], v[34:35]
	buffer_store_dword v22, off, s[96:99], 0 offset:8 ; 4-byte Folded Spill
	s_nop 0
	buffer_store_dword v23, off, s[96:99], 0 offset:12 ; 4-byte Folded Spill
	v_fmac_f64_e32 v[14:15], -2.0, v[2:3]
	v_mul_f64 v[30:31], s[12:13], v[18:19]
	v_cndmask_b32_e64 v0, v0, v41, s[0:1]
	v_mul_f64 v[0:1], -v[0:1], v[12:13]
	v_mul_f64 v[28:29], v[34:35], -v[24:25]
	s_waitcnt vmcnt(2)
	v_mul_f64 v[14:15], v[16:17], v[14:15]
	v_div_scale_f64 v[36:37], s[2:3], v[10:11], v[10:11], v[14:15]
	v_rcp_f64_e32 v[38:39], v[36:37]
	v_fma_f64 v[42:43], -v[36:37], v[38:39], 1.0
	v_fmac_f64_e32 v[38:39], v[38:39], v[42:43]
	v_fma_f64 v[42:43], -v[36:37], v[38:39], 1.0
	v_fmac_f64_e32 v[38:39], v[38:39], v[42:43]
	v_div_scale_f64 v[42:43], vcc, v[14:15], v[10:11], v[14:15]
	v_mul_f64 v[44:45], v[42:43], v[38:39]
	v_fma_f64 v[36:37], -v[36:37], v[44:45], v[42:43]
	s_nop 1
	v_div_fmas_f64 v[36:37], v[36:37], v[38:39], v[44:45]
	v_div_fixup_f64 v[14:15], v[36:37], v[10:11], v[14:15]
	v_fmac_f64_e32 v[14:15], s[12:13], v[18:19]
	v_mul_f64 v[36:37], v[32:33], -v[14:15]
	v_fma_f64 v[14:15], v[2:3], v[2:3], v[6:7]
	v_mul_f64 v[14:15], v[18:19], v[14:15]
	v_fma_f64 v[18:19], -v[16:17], v[30:31], v[14:15]
	v_add_f64 v[30:31], v[20:21], v[20:21]
	v_fma_f64 v[16:17], v[18:19], v[32:33], 1.0
	v_add_f64 v[18:19], v[2:3], -1.0
	v_mul_f64 v[30:31], v[20:21], v[30:31]
	v_fma_f64 v[14:15], -v[108:109], v[18:19], v[14:15]
	v_mul_f64 v[18:19], v[18:19], v[30:31]
	v_mul_f64 v[10:11], v[10:11], v[10:11]
	v_add_f64 v[14:15], v[14:15], -v[102:103]
	v_mul_f64 v[18:19], v[18:19], v[34:35]
	v_div_scale_f64 v[12:13], s[0:1], v[10:11], v[10:11], v[26:27]
	v_fma_f64 v[32:33], v[14:15], v[32:33], -v[18:19]
	v_rcp_f64_e32 v[14:15], v[12:13]
	s_mov_b32 s0, 0xd2f1a9fc
	s_mov_b32 s1, 0x3f50624d
	v_fma_f64 v[18:19], -v[12:13], v[14:15], 1.0
	v_fmac_f64_e32 v[14:15], v[14:15], v[18:19]
	v_fma_f64 v[18:19], -v[12:13], v[14:15], 1.0
	v_fmac_f64_e32 v[14:15], v[14:15], v[18:19]
	v_div_scale_f64 v[18:19], vcc, v[26:27], v[10:11], v[26:27]
	v_mul_f64 v[30:31], v[18:19], v[14:15]
	v_fma_f64 v[12:13], -v[12:13], v[30:31], v[18:19]
	s_nop 1
	v_div_fmas_f64 v[12:13], v[12:13], v[14:15], v[30:31]
	v_div_fixup_f64 v[10:11], v[12:13], v[10:11], v[26:27]
	v_add_f64 v[10:11], v[10:11], -v[6:7]
	v_mul_f64 v[0:1], v[10:11], v[0:1]
	v_mul_f64 v[12:13], v[0:1], v[34:35]
	;; [unrolled: 1-line block ×3, first 2 shown]
	v_add_f64 v[0:1], |v[0:1]|, |v[2:3]|
	v_add_f64 v[0:1], v[0:1], s[0:1]
	buffer_store_dword v0, off, s[96:99], 0 offset:64 ; 4-byte Folded Spill
	s_nop 0
	buffer_store_dword v1, off, s[96:99], 0 offset:68 ; 4-byte Folded Spill
	buffer_store_dword v28, off, s[96:99], 0 offset:24 ; 4-byte Folded Spill
	s_nop 0
	buffer_store_dword v29, off, s[96:99], 0 offset:28 ; 4-byte Folded Spill
	v_mul_f64 v[0:1], v[120:121], v[28:29]
	v_add_f64 v[0:1], |v[0:1]|, |v[4:5]|
	v_add_f64 v[0:1], v[0:1], s[0:1]
	buffer_store_dword v0, off, s[96:99], 0 offset:72 ; 4-byte Folded Spill
	s_nop 0
	buffer_store_dword v1, off, s[96:99], 0 offset:76 ; 4-byte Folded Spill
	buffer_store_dword v36, off, s[96:99], 0 offset:32 ; 4-byte Folded Spill
	s_nop 0
	buffer_store_dword v37, off, s[96:99], 0 offset:36 ; 4-byte Folded Spill
	buffer_load_dword v10, off, s[96:99], 0 offset:184 ; 4-byte Folded Reload
	buffer_load_dword v11, off, s[96:99], 0 offset:188 ; 4-byte Folded Reload
	v_mul_f64 v[0:1], v[120:121], v[36:37]
	s_waitcnt vmcnt(0)
	v_add_f64 v[0:1], |v[0:1]|, |v[10:11]|
	v_add_f64 v[0:1], v[0:1], s[0:1]
	buffer_store_dword v0, off, s[96:99], 0 offset:80 ; 4-byte Folded Spill
	s_nop 0
	buffer_store_dword v1, off, s[96:99], 0 offset:84 ; 4-byte Folded Spill
	buffer_store_dword v16, off, s[96:99], 0 offset:40 ; 4-byte Folded Spill
	s_nop 0
	buffer_store_dword v17, off, s[96:99], 0 offset:44 ; 4-byte Folded Spill
	buffer_load_dword v4, off, s[96:99], 0 offset:192 ; 4-byte Folded Reload
	buffer_load_dword v5, off, s[96:99], 0 offset:196 ; 4-byte Folded Reload
	v_mul_f64 v[0:1], v[120:121], -v[16:17]
	s_waitcnt vmcnt(0)
	v_add_f64 v[0:1], |v[0:1]|, |v[4:5]|
	v_add_f64 v[0:1], v[0:1], s[0:1]
	buffer_store_dword v0, off, s[96:99], 0 offset:88 ; 4-byte Folded Spill
	s_nop 0
	buffer_store_dword v1, off, s[96:99], 0 offset:92 ; 4-byte Folded Spill
	buffer_store_dword v32, off, s[96:99], 0 offset:48 ; 4-byte Folded Spill
	s_nop 0
	buffer_store_dword v33, off, s[96:99], 0 offset:52 ; 4-byte Folded Spill
	v_mul_f64 v[0:1], v[120:121], -v[32:33]
	v_add_f64 v[0:1], |v[0:1]|, |v[20:21]|
	v_add_f64 v[0:1], v[0:1], s[0:1]
	buffer_store_dword v0, off, s[96:99], 0 offset:96 ; 4-byte Folded Spill
	s_nop 0
	buffer_store_dword v1, off, s[96:99], 0 offset:100 ; 4-byte Folded Spill
	buffer_store_dword v12, off, s[96:99], 0 offset:56 ; 4-byte Folded Spill
	s_nop 0
	buffer_store_dword v13, off, s[96:99], 0 offset:60 ; 4-byte Folded Spill
	v_mul_f64 v[0:1], v[120:121], v[12:13]
	v_add_f64 v[0:1], |v[0:1]|, |v[24:25]|
	v_add_f64 v[0:1], v[0:1], s[0:1]
	buffer_store_dword v0, off, s[96:99], 0 offset:104 ; 4-byte Folded Spill
	s_nop 0
	buffer_store_dword v1, off, s[96:99], 0 offset:108 ; 4-byte Folded Spill
	s_branch .LBB0_90
.LBB0_87:                               ;   in Loop: Header=BB0_90 Depth=2
	s_or_b64 exec, exec, s[6:7]
.LBB0_88:                               ;   in Loop: Header=BB0_90 Depth=2
	s_or_b64 exec, exec, s[2:3]
	s_xor_b64 s[2:3], exec, -1
.LBB0_89:                               ;   in Loop: Header=BB0_90 Depth=2
	s_or_b64 exec, exec, s[0:1]
	s_and_b64 s[0:1], exec, s[2:3]
	s_or_b64 s[82:83], s[0:1], s[82:83]
	s_andn2_b64 exec, exec, s[82:83]
	s_cbranch_execz .LBB0_138
.LBB0_90:                               ;   Parent Loop BB0_78 Depth=1
                                        ; =>  This Inner Loop Header: Depth=2
	buffer_load_dword v0, off, s[96:99], 0 offset:24 ; 4-byte Folded Reload
	buffer_load_dword v1, off, s[96:99], 0 offset:28 ; 4-byte Folded Reload
	buffer_load_dword v4, off, s[96:99], 0  ; 4-byte Folded Reload
	buffer_load_dword v5, off, s[96:99], 0 offset:4 ; 4-byte Folded Reload
	v_pk_mov_b32 v[98:99], v[120:121], v[120:121] op_sel:[0,1]
                                        ; implicit-def: $vgpr46
                                        ; implicit-def: $vgpr12_vgpr13
                                        ; implicit-def: $vgpr54_vgpr55
	s_waitcnt vmcnt(2)
	v_mul_f64 v[48:49], v[0:1], v[98:99]
	s_waitcnt vmcnt(0)
	v_fma_f64 v[10:11], s[84:85], v[48:49], v[4:5]
	v_cmp_nlt_f64_e64 s[2:3], |v[10:11]|, s[4:5]
	v_trig_preop_f64 v[18:19], |v[10:11]|, 0
	v_trig_preop_f64 v[14:15], |v[10:11]|, 1
	v_ldexp_f64 v[30:31], |v[10:11]|, s33
	v_trig_preop_f64 v[0:1], |v[10:11]|, 2
	v_and_b32_e32 v36, 0x7fffffff, v11
	s_and_saveexec_b64 s[0:1], s[2:3]
	s_xor_b64 s[6:7], exec, s[0:1]
	s_cbranch_execz .LBB0_92
; %bb.91:                               ;   in Loop: Header=BB0_90 Depth=2
	v_cmp_ge_f64_e64 vcc, |v[10:11]|, s[64:65]
	v_cndmask_b32_e32 v13, v36, v31, vcc
	v_cndmask_b32_e32 v12, v10, v30, vcc
	v_mul_f64 v[34:35], v[18:19], v[12:13]
	v_mul_f64 v[32:33], v[14:15], v[12:13]
	v_fma_f64 v[38:39], v[18:19], v[12:13], -v[34:35]
	v_add_f64 v[42:43], v[32:33], v[38:39]
	v_add_f64 v[44:45], v[34:35], v[42:43]
	v_ldexp_f64 v[46:47], v[44:45], -2
	v_fract_f64_e32 v[50:51], v[46:47]
	v_cmp_neq_f64_e64 vcc, |v[46:47]|, s[34:35]
	v_cndmask_b32_e32 v47, 0, v51, vcc
	v_cndmask_b32_e32 v46, 0, v50, vcc
	v_add_f64 v[50:51], v[42:43], -v[32:33]
	v_add_f64 v[38:39], v[38:39], -v[50:51]
	v_add_f64 v[50:51], v[42:43], -v[50:51]
	v_add_f64 v[50:51], v[32:33], -v[50:51]
	v_add_f64 v[38:39], v[38:39], v[50:51]
	v_fma_f64 v[32:33], v[14:15], v[12:13], -v[32:33]
	v_mul_f64 v[50:51], v[0:1], v[12:13]
	v_add_f64 v[52:53], v[50:51], v[32:33]
	v_add_f64 v[54:55], v[52:53], v[38:39]
	v_add_f64 v[34:35], v[44:45], -v[34:35]
	v_add_f64 v[44:45], v[54:55], -v[52:53]
	;; [unrolled: 1-line block ×5, first 2 shown]
	v_add_f64 v[38:39], v[38:39], v[44:45]
	v_add_f64 v[44:45], v[52:53], -v[50:51]
	v_add_f64 v[32:33], v[32:33], -v[44:45]
	;; [unrolled: 1-line block ×5, first 2 shown]
	v_add_f64 v[42:43], v[34:35], v[54:55]
	v_add_f64 v[32:33], v[32:33], v[44:45]
	v_add_f64 v[34:35], v[42:43], -v[34:35]
	v_add_f64 v[32:33], v[32:33], v[38:39]
	v_fma_f64 v[12:13], v[0:1], v[12:13], -v[50:51]
	v_add_f64 v[34:35], v[54:55], -v[34:35]
	v_add_f64 v[12:13], v[12:13], v[32:33]
	v_ldexp_f64 v[32:33], v[46:47], 2
	v_add_f64 v[12:13], v[34:35], v[12:13]
	v_add_f64 v[34:35], v[42:43], v[32:33]
	v_cmp_gt_f64_e32 vcc, 0, v[34:35]
	v_mov_b32_e32 v9, 0x40100000
	v_cndmask_b32_e32 v9, 0, v9, vcc
	v_add_f64 v[32:33], v[32:33], v[8:9]
	v_add_f64 v[34:35], v[42:43], v[32:33]
	v_cvt_i32_f64_e32 v9, v[34:35]
	v_cvt_f64_i32_e32 v[34:35], v9
	v_add_f64 v[32:33], v[32:33], -v[34:35]
	v_add_f64 v[34:35], v[42:43], v[32:33]
	v_add_f64 v[32:33], v[34:35], -v[32:33]
	v_cmp_le_f64_e32 vcc, 0.5, v[34:35]
	v_add_f64 v[32:33], v[42:43], -v[32:33]
	v_addc_co_u32_e64 v46, s[0:1], 0, v9, vcc
	v_cndmask_b32_e32 v9, 0, v104, vcc
	v_add_f64 v[12:13], v[12:13], v[32:33]
	v_add_f64 v[32:33], v[34:35], -v[8:9]
	v_add_f64 v[34:35], v[32:33], v[12:13]
	v_add_f64 v[32:33], v[34:35], -v[32:33]
	s_mov_b32 s66, s68
	v_add_f64 v[12:13], v[12:13], -v[32:33]
	v_mul_f64 v[32:33], v[34:35], s[66:67]
	v_fma_f64 v[38:39], v[34:35], s[66:67], -v[32:33]
	s_mov_b32 s73, s71
	v_fmac_f64_e32 v[38:39], s[72:73], v[34:35]
	v_fmac_f64_e32 v[38:39], s[66:67], v[12:13]
	v_add_f64 v[12:13], v[32:33], v[38:39]
	v_add_f64 v[32:33], v[12:13], -v[32:33]
	v_add_f64 v[54:55], v[38:39], -v[32:33]
	s_andn2_saveexec_b64 s[0:1], s[6:7]
	s_cbranch_execz .LBB0_94
	s_branch .LBB0_93
.LBB0_92:                               ;   in Loop: Header=BB0_90 Depth=2
	s_andn2_saveexec_b64 s[0:1], s[6:7]
	s_cbranch_execz .LBB0_94
.LBB0_93:                               ;   in Loop: Header=BB0_90 Depth=2
	v_mul_f64 v[12:13], |v[10:11]|, s[74:75]
	v_rndne_f64_e32 v[32:33], v[12:13]
	v_fma_f64 v[12:13], v[32:33], s[68:69], |v[10:11]|
	v_mul_f64 v[38:39], v[32:33], s[76:77]
	v_add_f64 v[44:45], v[12:13], v[38:39]
	v_fma_f64 v[34:35], s[76:77], v[32:33], v[12:13]
	s_mov_b32 s70, s76
	v_add_f64 v[12:13], v[12:13], -v[44:45]
	v_fma_f64 v[42:43], s[70:71], v[32:33], v[38:39]
	v_add_f64 v[12:13], v[12:13], v[38:39]
	v_add_f64 v[38:39], v[44:45], -v[34:35]
	v_add_f64 v[12:13], v[38:39], v[12:13]
	v_add_f64 v[38:39], v[12:13], -v[42:43]
	v_fmac_f64_e32 v[38:39], s[78:79], v[32:33]
	v_add_f64 v[12:13], v[34:35], v[38:39]
	v_add_f64 v[34:35], v[12:13], -v[34:35]
	v_add_f64 v[54:55], v[38:39], -v[34:35]
	v_cvt_i32_f64_e32 v46, v[32:33]
.LBB0_94:                               ;   in Loop: Header=BB0_90 Depth=2
	s_or_b64 exec, exec, s[0:1]
                                        ; implicit-def: $vgpr37
                                        ; implicit-def: $vgpr32_vgpr33
                                        ; implicit-def: $vgpr34_vgpr35
	s_and_saveexec_b64 s[0:1], s[2:3]
	s_xor_b64 s[2:3], exec, s[0:1]
	s_cbranch_execz .LBB0_96
; %bb.95:                               ;   in Loop: Header=BB0_90 Depth=2
	v_cmp_ge_f64_e64 vcc, |v[10:11]|, s[64:65]
	v_cndmask_b32_e32 v31, v36, v31, vcc
	v_cndmask_b32_e32 v30, v10, v30, vcc
	v_mul_f64 v[34:35], v[18:19], v[30:31]
	v_mul_f64 v[32:33], v[14:15], v[30:31]
	v_fma_f64 v[18:19], v[18:19], v[30:31], -v[34:35]
	v_add_f64 v[36:37], v[32:33], v[18:19]
	v_add_f64 v[38:39], v[34:35], v[36:37]
	v_ldexp_f64 v[42:43], v[38:39], -2
	v_fract_f64_e32 v[44:45], v[42:43]
	v_cmp_neq_f64_e64 vcc, |v[42:43]|, s[34:35]
	v_cndmask_b32_e32 v43, 0, v45, vcc
	v_cndmask_b32_e32 v42, 0, v44, vcc
	v_add_f64 v[44:45], v[36:37], -v[32:33]
	v_add_f64 v[18:19], v[18:19], -v[44:45]
	;; [unrolled: 1-line block ×4, first 2 shown]
	v_fma_f64 v[14:15], v[14:15], v[30:31], -v[32:33]
	v_mul_f64 v[32:33], v[0:1], v[30:31]
	v_add_f64 v[18:19], v[18:19], v[44:45]
	v_add_f64 v[44:45], v[32:33], v[14:15]
	;; [unrolled: 1-line block ×3, first 2 shown]
	v_add_f64 v[34:35], v[38:39], -v[34:35]
	v_add_f64 v[38:39], v[50:51], -v[44:45]
	;; [unrolled: 1-line block ×5, first 2 shown]
	v_add_f64 v[18:19], v[18:19], v[38:39]
	v_add_f64 v[38:39], v[44:45], -v[32:33]
	v_add_f64 v[14:15], v[14:15], -v[38:39]
	v_add_f64 v[38:39], v[44:45], -v[38:39]
	v_add_f64 v[38:39], v[32:33], -v[38:39]
	v_add_f64 v[14:15], v[14:15], v[38:39]
	v_add_f64 v[34:35], v[36:37], -v[34:35]
	v_add_f64 v[14:15], v[14:15], v[18:19]
	v_fma_f64 v[0:1], v[0:1], v[30:31], -v[32:33]
	v_add_f64 v[36:37], v[34:35], v[50:51]
	v_add_f64 v[0:1], v[0:1], v[14:15]
	v_ldexp_f64 v[14:15], v[42:43], 2
	v_add_f64 v[18:19], v[36:37], v[14:15]
	v_cmp_gt_f64_e32 vcc, 0, v[18:19]
	v_mov_b32_e32 v9, 0x40100000
	v_cndmask_b32_e32 v9, 0, v9, vcc
	v_add_f64 v[14:15], v[14:15], v[8:9]
	v_add_f64 v[18:19], v[36:37], v[14:15]
	v_cvt_i32_f64_e32 v9, v[18:19]
	v_cvt_f64_i32_e32 v[18:19], v9
	v_add_f64 v[14:15], v[14:15], -v[18:19]
	v_add_f64 v[34:35], v[36:37], -v[34:35]
	v_add_f64 v[18:19], v[36:37], v[14:15]
	v_add_f64 v[34:35], v[50:51], -v[34:35]
	v_add_f64 v[14:15], v[18:19], -v[14:15]
	v_cmp_le_f64_e32 vcc, 0.5, v[18:19]
	v_add_f64 v[0:1], v[34:35], v[0:1]
	v_add_f64 v[14:15], v[36:37], -v[14:15]
	v_addc_co_u32_e64 v37, s[0:1], 0, v9, vcc
	v_cndmask_b32_e32 v9, 0, v104, vcc
	v_add_f64 v[0:1], v[0:1], v[14:15]
	v_add_f64 v[14:15], v[18:19], -v[8:9]
	v_add_f64 v[18:19], v[14:15], v[0:1]
	v_add_f64 v[14:15], v[18:19], -v[14:15]
	s_mov_b32 s66, s68
	v_add_f64 v[0:1], v[0:1], -v[14:15]
	v_mul_f64 v[14:15], v[18:19], s[66:67]
	v_fma_f64 v[30:31], v[18:19], s[66:67], -v[14:15]
	s_mov_b32 s73, s71
	v_fmac_f64_e32 v[30:31], s[72:73], v[18:19]
	v_fmac_f64_e32 v[30:31], s[66:67], v[0:1]
	v_add_f64 v[32:33], v[14:15], v[30:31]
	v_add_f64 v[0:1], v[32:33], -v[14:15]
	v_add_f64 v[34:35], v[30:31], -v[0:1]
	s_andn2_saveexec_b64 s[0:1], s[2:3]
	s_cbranch_execnz .LBB0_97
	s_branch .LBB0_98
.LBB0_96:                               ;   in Loop: Header=BB0_90 Depth=2
	s_andn2_saveexec_b64 s[0:1], s[2:3]
	s_cbranch_execz .LBB0_98
.LBB0_97:                               ;   in Loop: Header=BB0_90 Depth=2
	v_mul_f64 v[0:1], |v[10:11]|, s[74:75]
	v_rndne_f64_e32 v[0:1], v[0:1]
	v_fma_f64 v[14:15], v[0:1], s[68:69], |v[10:11]|
	v_mul_f64 v[30:31], v[0:1], s[76:77]
	v_add_f64 v[34:35], v[14:15], v[30:31]
	v_fma_f64 v[18:19], s[76:77], v[0:1], v[14:15]
	s_mov_b32 s70, s76
	v_add_f64 v[14:15], v[14:15], -v[34:35]
	v_fma_f64 v[32:33], s[70:71], v[0:1], v[30:31]
	v_add_f64 v[14:15], v[14:15], v[30:31]
	v_add_f64 v[30:31], v[34:35], -v[18:19]
	v_add_f64 v[14:15], v[30:31], v[14:15]
	v_add_f64 v[14:15], v[14:15], -v[32:33]
	v_fmac_f64_e32 v[14:15], s[78:79], v[0:1]
	v_add_f64 v[32:33], v[18:19], v[14:15]
	v_add_f64 v[18:19], v[32:33], -v[18:19]
	v_add_f64 v[34:35], v[14:15], -v[18:19]
	v_cvt_i32_f64_e32 v37, v[0:1]
.LBB0_98:                               ;   in Loop: Header=BB0_90 Depth=2
	s_or_b64 exec, exec, s[0:1]
	buffer_load_dword v0, off, s[96:99], 0 offset:8 ; 4-byte Folded Reload
	buffer_load_dword v1, off, s[96:99], 0 offset:12 ; 4-byte Folded Reload
	buffer_load_dword v42, off, s[96:99], 0 offset:128 ; 4-byte Folded Reload
	buffer_load_dword v43, off, s[96:99], 0 offset:132 ; 4-byte Folded Reload
	buffer_load_dword v44, off, s[96:99], 0 offset:136 ; 4-byte Folded Reload
	buffer_load_dword v45, off, s[96:99], 0 offset:140 ; 4-byte Folded Reload
	v_mul_f64 v[14:15], v[32:33], v[32:33]
	v_mul_f64 v[18:19], v[14:15], 0.5
	v_add_f64 v[30:31], -v[18:19], 1.0
	v_add_f64 v[38:39], -v[30:31], 1.0
	v_add_f64 v[18:19], v[38:39], -v[18:19]
	v_mul_f64 v[38:39], v[14:15], v[14:15]
	v_fma_f64 v[18:19], v[32:33], -v[34:35], v[18:19]
	v_cmp_class_f64_e64 s[0:1], v[10:11], s36
	v_fma_f64 v[60:61], s[86:87], v[48:49], v[4:5]
                                        ; implicit-def: $vgpr70
                                        ; implicit-def: $vgpr66_vgpr67
	s_waitcnt vmcnt(4)
	v_mul_f64 v[96:97], v[0:1], v[98:99]
	s_waitcnt vmcnt(2)
	v_fmac_f64_e32 v[42:43], s[8:9], v[14:15]
	s_waitcnt vmcnt(0)
	v_fmac_f64_e32 v[44:45], v[14:15], v[42:43]
	buffer_load_dword v42, off, s[96:99], 0 offset:144 ; 4-byte Folded Reload
	buffer_load_dword v43, off, s[96:99], 0 offset:148 ; 4-byte Folded Reload
	v_fma_f64 v[0:1], s[84:85], v[96:97], v[2:3]
	v_mul_f64 v[52:53], v[0:1], v[0:1]
	s_waitcnt vmcnt(0)
	v_fmac_f64_e32 v[42:43], v[14:15], v[44:45]
	buffer_load_dword v44, off, s[96:99], 0 offset:152 ; 4-byte Folded Reload
	buffer_load_dword v45, off, s[96:99], 0 offset:156 ; 4-byte Folded Reload
	s_waitcnt vmcnt(0)
	v_fmac_f64_e32 v[44:45], v[14:15], v[42:43]
	buffer_load_dword v42, off, s[96:99], 0 offset:112 ; 4-byte Folded Reload
	buffer_load_dword v43, off, s[96:99], 0 offset:116 ; 4-byte Folded Reload
	s_waitcnt vmcnt(0)
	v_fmac_f64_e32 v[42:43], v[14:15], v[44:45]
	v_fmac_f64_e32 v[18:19], v[38:39], v[42:43]
	v_add_f64 v[18:19], v[30:31], v[18:19]
	buffer_load_dword v30, off, s[96:99], 0 offset:160 ; 4-byte Folded Reload
	buffer_load_dword v31, off, s[96:99], 0 offset:164 ; 4-byte Folded Reload
	;; [unrolled: 1-line block ×4, first 2 shown]
	v_mul_f64 v[42:43], v[34:35], 0.5
	s_waitcnt vmcnt(2)
	v_fmac_f64_e32 v[30:31], s[24:25], v[14:15]
	s_waitcnt vmcnt(0)
	v_fmac_f64_e32 v[38:39], v[14:15], v[30:31]
	buffer_load_dword v30, off, s[96:99], 0 offset:176 ; 4-byte Folded Reload
	buffer_load_dword v31, off, s[96:99], 0 offset:180 ; 4-byte Folded Reload
	s_waitcnt vmcnt(0)
	v_fmac_f64_e32 v[30:31], v[14:15], v[38:39]
	buffer_load_dword v38, off, s[96:99], 0 offset:120 ; 4-byte Folded Reload
	buffer_load_dword v39, off, s[96:99], 0 offset:124 ; 4-byte Folded Reload
	buffer_load_dword v16, off, s[96:99], 0 offset:56 ; 4-byte Folded Reload
	buffer_load_dword v17, off, s[96:99], 0 offset:60 ; 4-byte Folded Reload
	s_waitcnt vmcnt(2)
	v_fmac_f64_e32 v[38:39], v[14:15], v[30:31]
	v_mul_f64 v[30:31], v[32:33], -v[14:15]
	v_fmac_f64_e32 v[42:43], v[30:31], v[38:39]
	v_fma_f64 v[14:15], v[14:15], v[42:43], -v[34:35]
	v_fmac_f64_e32 v[14:15], s[20:21], v[30:31]
	v_add_f64 v[14:15], v[32:33], -v[14:15]
	v_xor_b32_e32 v9, 0x80000000, v15
	v_and_b32_e32 v15, 1, v37
	v_cmp_eq_u32_e32 vcc, 0, v15
	v_lshlrev_b32_e32 v15, 30, v37
	v_cndmask_b32_e32 v9, v9, v19, vcc
	v_and_b32_e32 v15, 0x80000000, v15
	v_cndmask_b32_e32 v14, v14, v18, vcc
	v_xor_b32_e32 v9, v9, v15
	v_cndmask_b32_e64 v32, 0, v14, s[0:1]
	v_cndmask_b32_e64 v33, v126, v9, s[0:1]
	v_mul_f64 v[14:15], v[32:33], v[32:33]
	v_fma_f64 v[64:65], v[6:7], v[14:15], v[52:53]
	v_div_scale_f64 v[14:15], s[2:3], v[64:65], v[64:65], 1.0
	v_rcp_f64_e32 v[18:19], v[14:15]
	s_waitcnt vmcnt(0)
	v_mul_f64 v[100:101], v[16:17], v[98:99]
	v_fma_f64 v[30:31], s[84:85], v[100:101], v[24:25]
	v_fma_f64 v[34:35], -v[14:15], v[18:19], 1.0
	v_fmac_f64_e32 v[18:19], v[18:19], v[34:35]
	v_fma_f64 v[34:35], -v[14:15], v[18:19], 1.0
	v_fmac_f64_e32 v[18:19], v[18:19], v[34:35]
	v_div_scale_f64 v[34:35], vcc, 1.0, v[64:65], 1.0
	v_mul_f64 v[36:37], v[34:35], v[18:19]
	v_fma_f64 v[14:15], -v[14:15], v[36:37], v[34:35]
	s_nop 1
	v_div_fmas_f64 v[14:15], v[14:15], v[18:19], v[36:37]
	v_div_fixup_f64 v[62:63], v[14:15], v[64:65], 1.0
	v_mul_f64 v[14:15], v[62:63], -v[30:31]
	v_mul_f64 v[14:15], v[98:99], v[14:15]
	v_fmac_f64_e32 v[60:61], s[88:89], v[14:15]
	v_cmp_nlt_f64_e64 s[6:7], |v[60:61]|, s[4:5]
	v_trig_preop_f64 v[38:39], |v[60:61]|, 0
	v_trig_preop_f64 v[34:35], |v[60:61]|, 1
	v_ldexp_f64 v[44:45], |v[60:61]|, s33
	v_trig_preop_f64 v[18:19], |v[60:61]|, 2
	v_and_b32_e32 v47, 0x7fffffff, v61
                                        ; implicit-def: $vgpr30_vgpr31
	s_and_saveexec_b64 s[2:3], s[6:7]
	s_xor_b64 s[22:23], exec, s[2:3]
	s_cbranch_execz .LBB0_100
; %bb.99:                               ;   in Loop: Header=BB0_90 Depth=2
	v_cmp_ge_f64_e64 vcc, |v[60:61]|, s[64:65]
	v_cndmask_b32_e32 v31, v47, v45, vcc
	v_cndmask_b32_e32 v30, v60, v44, vcc
	v_mul_f64 v[42:43], v[38:39], v[30:31]
	v_mul_f64 v[36:37], v[34:35], v[30:31]
	v_fma_f64 v[50:51], v[38:39], v[30:31], -v[42:43]
	v_add_f64 v[56:57], v[36:37], v[50:51]
	v_add_f64 v[58:59], v[42:43], v[56:57]
	v_ldexp_f64 v[66:67], v[58:59], -2
	v_fract_f64_e32 v[68:69], v[66:67]
	v_cmp_neq_f64_e64 vcc, |v[66:67]|, s[34:35]
	v_cndmask_b32_e32 v67, 0, v69, vcc
	v_cndmask_b32_e32 v66, 0, v68, vcc
	v_add_f64 v[68:69], v[56:57], -v[36:37]
	v_add_f64 v[50:51], v[50:51], -v[68:69]
	;; [unrolled: 1-line block ×4, first 2 shown]
	v_add_f64 v[50:51], v[50:51], v[68:69]
	v_fma_f64 v[36:37], v[34:35], v[30:31], -v[36:37]
	v_mul_f64 v[68:69], v[18:19], v[30:31]
	v_add_f64 v[70:71], v[68:69], v[36:37]
	v_add_f64 v[72:73], v[70:71], v[50:51]
	v_add_f64 v[42:43], v[58:59], -v[42:43]
	v_add_f64 v[58:59], v[72:73], -v[70:71]
	;; [unrolled: 1-line block ×5, first 2 shown]
	v_add_f64 v[50:51], v[50:51], v[58:59]
	v_add_f64 v[58:59], v[70:71], -v[68:69]
	v_add_f64 v[36:37], v[36:37], -v[58:59]
	;; [unrolled: 1-line block ×5, first 2 shown]
	v_add_f64 v[56:57], v[42:43], v[72:73]
	v_add_f64 v[36:37], v[36:37], v[58:59]
	v_add_f64 v[42:43], v[56:57], -v[42:43]
	v_add_f64 v[36:37], v[36:37], v[50:51]
	v_fma_f64 v[30:31], v[18:19], v[30:31], -v[68:69]
	v_add_f64 v[42:43], v[72:73], -v[42:43]
	v_add_f64 v[30:31], v[30:31], v[36:37]
	v_ldexp_f64 v[36:37], v[66:67], 2
	v_add_f64 v[30:31], v[42:43], v[30:31]
	v_add_f64 v[42:43], v[56:57], v[36:37]
	v_cmp_gt_f64_e32 vcc, 0, v[42:43]
	v_mov_b32_e32 v9, 0x40100000
	v_cndmask_b32_e32 v9, 0, v9, vcc
	v_add_f64 v[36:37], v[36:37], v[8:9]
	v_add_f64 v[42:43], v[56:57], v[36:37]
	v_cvt_i32_f64_e32 v9, v[42:43]
	v_cvt_f64_i32_e32 v[42:43], v9
	v_add_f64 v[36:37], v[36:37], -v[42:43]
	v_add_f64 v[42:43], v[56:57], v[36:37]
	v_add_f64 v[36:37], v[42:43], -v[36:37]
	v_cmp_le_f64_e32 vcc, 0.5, v[42:43]
	v_add_f64 v[36:37], v[56:57], -v[36:37]
	v_addc_co_u32_e64 v70, s[2:3], 0, v9, vcc
	v_cndmask_b32_e32 v9, 0, v104, vcc
	v_add_f64 v[30:31], v[30:31], v[36:37]
	v_add_f64 v[36:37], v[42:43], -v[8:9]
	v_add_f64 v[42:43], v[36:37], v[30:31]
	v_add_f64 v[36:37], v[42:43], -v[36:37]
	s_mov_b32 s66, s68
	v_add_f64 v[30:31], v[30:31], -v[36:37]
	v_mul_f64 v[36:37], v[42:43], s[66:67]
	v_fma_f64 v[50:51], v[42:43], s[66:67], -v[36:37]
	s_mov_b32 s73, s71
	v_fmac_f64_e32 v[50:51], s[72:73], v[42:43]
	v_fmac_f64_e32 v[50:51], s[66:67], v[30:31]
	v_add_f64 v[30:31], v[36:37], v[50:51]
	v_add_f64 v[36:37], v[30:31], -v[36:37]
	v_add_f64 v[66:67], v[50:51], -v[36:37]
	s_andn2_saveexec_b64 s[2:3], s[22:23]
	s_cbranch_execz .LBB0_102
	s_branch .LBB0_101
.LBB0_100:                              ;   in Loop: Header=BB0_90 Depth=2
	s_andn2_saveexec_b64 s[2:3], s[22:23]
	s_cbranch_execz .LBB0_102
.LBB0_101:                              ;   in Loop: Header=BB0_90 Depth=2
	v_mul_f64 v[30:31], |v[60:61]|, s[74:75]
	v_rndne_f64_e32 v[36:37], v[30:31]
	v_fma_f64 v[30:31], v[36:37], s[68:69], |v[60:61]|
	v_mul_f64 v[50:51], v[36:37], s[76:77]
	v_add_f64 v[58:59], v[30:31], v[50:51]
	v_fma_f64 v[42:43], s[76:77], v[36:37], v[30:31]
	s_mov_b32 s70, s76
	v_add_f64 v[30:31], v[30:31], -v[58:59]
	v_fma_f64 v[56:57], s[70:71], v[36:37], v[50:51]
	v_add_f64 v[30:31], v[30:31], v[50:51]
	v_add_f64 v[50:51], v[58:59], -v[42:43]
	v_add_f64 v[30:31], v[50:51], v[30:31]
	v_add_f64 v[50:51], v[30:31], -v[56:57]
	v_fmac_f64_e32 v[50:51], s[78:79], v[36:37]
	v_add_f64 v[30:31], v[42:43], v[50:51]
	v_add_f64 v[42:43], v[30:31], -v[42:43]
	v_add_f64 v[66:67], v[50:51], -v[42:43]
	v_cvt_i32_f64_e32 v70, v[36:37]
.LBB0_102:                              ;   in Loop: Header=BB0_90 Depth=2
	s_or_b64 exec, exec, s[2:3]
                                        ; implicit-def: $vgpr10
                                        ; implicit-def: $vgpr36_vgpr37
                                        ; implicit-def: $vgpr42_vgpr43
	s_and_saveexec_b64 s[2:3], s[6:7]
	s_xor_b64 s[6:7], exec, s[2:3]
	s_cbranch_execz .LBB0_104
; %bb.103:                              ;   in Loop: Header=BB0_90 Depth=2
	v_cmp_ge_f64_e64 vcc, |v[60:61]|, s[64:65]
	v_cndmask_b32_e32 v37, v47, v45, vcc
	v_cndmask_b32_e32 v36, v60, v44, vcc
	v_mul_f64 v[44:45], v[38:39], v[36:37]
	v_mul_f64 v[42:43], v[34:35], v[36:37]
	v_fma_f64 v[38:39], v[38:39], v[36:37], -v[44:45]
	v_add_f64 v[50:51], v[42:43], v[38:39]
	v_add_f64 v[56:57], v[44:45], v[50:51]
	v_ldexp_f64 v[58:59], v[56:57], -2
	v_fract_f64_e32 v[68:69], v[58:59]
	v_cmp_neq_f64_e64 vcc, |v[58:59]|, s[34:35]
	v_cndmask_b32_e32 v59, 0, v69, vcc
	v_cndmask_b32_e32 v58, 0, v68, vcc
	v_add_f64 v[68:69], v[50:51], -v[42:43]
	v_add_f64 v[38:39], v[38:39], -v[68:69]
	v_add_f64 v[68:69], v[50:51], -v[68:69]
	v_add_f64 v[68:69], v[42:43], -v[68:69]
	v_fma_f64 v[34:35], v[34:35], v[36:37], -v[42:43]
	v_mul_f64 v[42:43], v[18:19], v[36:37]
	v_add_f64 v[38:39], v[38:39], v[68:69]
	v_add_f64 v[68:69], v[42:43], v[34:35]
	;; [unrolled: 1-line block ×3, first 2 shown]
	v_add_f64 v[44:45], v[56:57], -v[44:45]
	v_add_f64 v[56:57], v[72:73], -v[68:69]
	v_add_f64 v[38:39], v[38:39], -v[56:57]
	v_add_f64 v[56:57], v[72:73], -v[56:57]
	v_add_f64 v[56:57], v[68:69], -v[56:57]
	v_add_f64 v[38:39], v[38:39], v[56:57]
	v_add_f64 v[56:57], v[68:69], -v[42:43]
	v_add_f64 v[34:35], v[34:35], -v[56:57]
	;; [unrolled: 1-line block ×4, first 2 shown]
	v_add_f64 v[34:35], v[34:35], v[56:57]
	v_add_f64 v[44:45], v[50:51], -v[44:45]
	v_add_f64 v[34:35], v[34:35], v[38:39]
	v_fma_f64 v[18:19], v[18:19], v[36:37], -v[42:43]
	v_add_f64 v[50:51], v[44:45], v[72:73]
	v_add_f64 v[18:19], v[18:19], v[34:35]
	v_ldexp_f64 v[34:35], v[58:59], 2
	v_add_f64 v[36:37], v[50:51], v[34:35]
	v_cmp_gt_f64_e32 vcc, 0, v[36:37]
	v_mov_b32_e32 v9, 0x40100000
	v_cndmask_b32_e32 v9, 0, v9, vcc
	v_add_f64 v[34:35], v[34:35], v[8:9]
	v_add_f64 v[36:37], v[50:51], v[34:35]
	v_cvt_i32_f64_e32 v9, v[36:37]
	v_cvt_f64_i32_e32 v[36:37], v9
	v_add_f64 v[34:35], v[34:35], -v[36:37]
	v_add_f64 v[44:45], v[50:51], -v[44:45]
	v_add_f64 v[36:37], v[50:51], v[34:35]
	v_add_f64 v[44:45], v[72:73], -v[44:45]
	v_add_f64 v[34:35], v[36:37], -v[34:35]
	v_cmp_le_f64_e32 vcc, 0.5, v[36:37]
	v_add_f64 v[18:19], v[44:45], v[18:19]
	v_add_f64 v[34:35], v[50:51], -v[34:35]
	v_addc_co_u32_e64 v10, s[2:3], 0, v9, vcc
	v_cndmask_b32_e32 v9, 0, v104, vcc
	v_add_f64 v[18:19], v[18:19], v[34:35]
	v_add_f64 v[34:35], v[36:37], -v[8:9]
	v_add_f64 v[36:37], v[34:35], v[18:19]
	v_add_f64 v[34:35], v[36:37], -v[34:35]
	s_mov_b32 s66, s68
	v_add_f64 v[18:19], v[18:19], -v[34:35]
	v_mul_f64 v[34:35], v[36:37], s[66:67]
	v_fma_f64 v[38:39], v[36:37], s[66:67], -v[34:35]
	s_mov_b32 s73, s71
	v_fmac_f64_e32 v[38:39], s[72:73], v[36:37]
	v_fmac_f64_e32 v[38:39], s[66:67], v[18:19]
	v_add_f64 v[36:37], v[34:35], v[38:39]
	v_add_f64 v[18:19], v[36:37], -v[34:35]
	v_add_f64 v[42:43], v[38:39], -v[18:19]
	s_andn2_saveexec_b64 s[2:3], s[6:7]
	s_cbranch_execnz .LBB0_105
	s_branch .LBB0_106
.LBB0_104:                              ;   in Loop: Header=BB0_90 Depth=2
	s_andn2_saveexec_b64 s[2:3], s[6:7]
	s_cbranch_execz .LBB0_106
.LBB0_105:                              ;   in Loop: Header=BB0_90 Depth=2
	v_mul_f64 v[18:19], |v[60:61]|, s[74:75]
	v_rndne_f64_e32 v[18:19], v[18:19]
	v_fma_f64 v[34:35], v[18:19], s[68:69], |v[60:61]|
	v_mul_f64 v[36:37], v[18:19], s[76:77]
	v_add_f64 v[44:45], v[34:35], v[36:37]
	v_fma_f64 v[38:39], s[76:77], v[18:19], v[34:35]
	s_mov_b32 s70, s76
	v_add_f64 v[34:35], v[34:35], -v[44:45]
	v_fma_f64 v[42:43], s[70:71], v[18:19], v[36:37]
	v_add_f64 v[34:35], v[34:35], v[36:37]
	v_add_f64 v[36:37], v[44:45], -v[38:39]
	v_add_f64 v[34:35], v[36:37], v[34:35]
	v_add_f64 v[34:35], v[34:35], -v[42:43]
	v_fmac_f64_e32 v[34:35], s[78:79], v[18:19]
	v_add_f64 v[36:37], v[38:39], v[34:35]
	v_add_f64 v[38:39], v[36:37], -v[38:39]
	v_add_f64 v[42:43], v[34:35], -v[38:39]
	v_cvt_i32_f64_e32 v10, v[18:19]
.LBB0_106:                              ;   in Loop: Header=BB0_90 Depth=2
	s_or_b64 exec, exec, s[2:3]
	s_mov_b32 s90, s86
	v_fma_f64 v[18:19], s[90:91], v[48:49], v[4:5]
	buffer_load_dword v4, off, s[96:99], 0 offset:48 ; 4-byte Folded Reload
	buffer_load_dword v5, off, s[96:99], 0 offset:52 ; 4-byte Folded Reload
	s_mov_b32 s2, 0xb42fdfa7
	s_mov_b32 s3, 0xbe5ae600
	v_mul_f64 v[34:35], v[12:13], v[12:13]
	v_pk_mov_b32 v[44:45], s[2:3], s[2:3] op_sel:[0,1]
	v_fma_f64 v[58:59], s[24:25], v[34:35], v[44:45]
	v_fma_f64 v[58:59], v[34:35], v[58:59], s[26:27]
	;; [unrolled: 1-line block ×3, first 2 shown]
	s_mov_b32 s2, 0x9037ab78
	v_mul_f64 v[56:57], v[12:13], -v[34:35]
	v_fma_f64 v[58:59], v[34:35], v[58:59], s[30:31]
	v_mul_f64 v[72:73], v[54:55], 0.5
	s_mov_b32 s3, 0x3e21eeb6
	v_fmac_f64_e32 v[72:73], v[56:57], v[58:59]
	v_pk_mov_b32 v[76:77], s[2:3], s[2:3] op_sel:[0,1]
	v_fma_f64 v[58:59], v[34:35], v[72:73], -v[54:55]
	v_fma_f64 v[78:79], s[8:9], v[34:35], v[76:77]
	v_fmac_f64_e32 v[58:59], s[20:21], v[56:57]
	v_fma_f64 v[78:79], v[34:35], v[78:79], s[10:11]
	v_add_f64 v[56:57], v[12:13], -v[58:59]
	v_mul_f64 v[58:59], v[34:35], 0.5
	v_fma_f64 v[78:79], v[34:35], v[78:79], s[14:15]
	v_add_f64 v[72:73], -v[58:59], 1.0
	v_fma_f64 v[78:79], v[34:35], v[78:79], s[16:17]
	v_mul_f64 v[74:75], v[34:35], v[34:35]
	v_fma_f64 v[34:35], v[34:35], v[78:79], s[18:19]
	v_add_f64 v[78:79], -v[72:73], 1.0
	v_add_f64 v[58:59], v[78:79], -v[58:59]
	v_fma_f64 v[12:13], v[12:13], -v[54:55], v[58:59]
	v_and_b32_e32 v9, 1, v46
	v_fmac_f64_e32 v[12:13], v[74:75], v[34:35]
	v_cmp_eq_u32_e32 vcc, 0, v9
	v_add_f64 v[12:13], v[72:73], v[12:13]
	v_cndmask_b32_e32 v9, v12, v56, vcc
	v_cndmask_b32_e32 v12, v13, v57, vcc
	v_lshlrev_b32_e32 v13, 30, v46
	v_xor_b32_e32 v11, v13, v11
	v_and_b32_e32 v11, 0x80000000, v11
	v_xor_b32_e32 v11, v12, v11
	v_cndmask_b32_e64 v12, 0, v9, s[0:1]
	v_cndmask_b32_e64 v13, v126, v11, s[0:1]
	v_mul_f64 v[34:35], v[12:13], v[12:13]
	v_cmp_gt_f64_e32 vcc, s[80:81], v[12:13]
	v_cndmask_b32_e32 v47, v35, v106, vcc
	v_cndmask_b32_e32 v46, v34, v110, vcc
	v_cndmask_b32_e32 v13, v13, v40, vcc
	v_cndmask_b32_e32 v12, v12, v41, vcc
	v_mul_f64 v[12:13], -v[12:13], v[32:33]
	v_mul_f64 v[32:33], v[46:47], v[46:47]
	v_div_scale_f64 v[46:47], s[0:1], v[32:33], v[32:33], v[26:27]
	v_rcp_f64_e32 v[56:57], v[46:47]
	v_fma_f64 v[34:35], -2.0, v[0:1], v[52:53]
	v_add_f64 v[34:35], v[6:7], v[34:35]
	v_and_b32_e32 v11, 1, v10
	v_fma_f64 v[58:59], -v[46:47], v[56:57], 1.0
	v_fmac_f64_e32 v[56:57], v[56:57], v[58:59]
	v_fma_f64 v[58:59], -v[46:47], v[56:57], 1.0
	v_fmac_f64_e32 v[56:57], v[56:57], v[58:59]
	v_div_scale_f64 v[58:59], vcc, v[26:27], v[32:33], v[26:27]
	v_mul_f64 v[72:73], v[58:59], v[56:57]
	v_fma_f64 v[46:47], -v[46:47], v[72:73], v[58:59]
	v_lshlrev_b32_e32 v10, 30, v10
	s_nop 0
	v_div_fmas_f64 v[46:47], v[46:47], v[56:57], v[72:73]
	v_div_fixup_f64 v[32:33], v[46:47], v[32:33], v[26:27]
	v_add_f64 v[32:33], v[32:33], -v[6:7]
	v_mul_f64 v[12:13], v[32:33], v[12:13]
	v_mul_f64 v[32:33], v[36:37], v[36:37]
	v_mul_f64 v[46:47], v[32:33], 0.5
	v_fma_f64 v[58:59], s[8:9], v[32:33], v[76:77]
	v_fma_f64 v[58:59], v[32:33], v[58:59], s[10:11]
	;; [unrolled: 1-line block ×9, first 2 shown]
	v_cmp_eq_u32_e32 vcc, 0, v11
	s_waitcnt vmcnt(0)
	v_mul_f64 v[116:117], v[98:99], -v[4:5]
	v_fma_f64 v[68:69], s[84:85], v[116:117], v[20:21]
	v_mul_f64 v[54:55], v[34:35], -v[68:69]
	v_mul_f64 v[54:55], v[54:55], v[62:63]
	v_mul_f64 v[120:121], v[98:99], v[54:55]
	v_add_f64 v[54:55], -v[46:47], 1.0
	v_add_f64 v[56:57], -v[54:55], 1.0
	v_add_f64 v[46:47], v[56:57], -v[46:47]
	v_mul_f64 v[56:57], v[32:33], v[32:33]
	v_fma_f64 v[46:47], v[36:37], -v[42:43], v[46:47]
	v_fmac_f64_e32 v[46:47], v[56:57], v[58:59]
	v_add_f64 v[46:47], v[54:55], v[46:47]
	v_mul_f64 v[54:55], v[36:37], -v[32:33]
	v_mul_f64 v[56:57], v[42:43], 0.5
	v_fmac_f64_e32 v[56:57], v[54:55], v[44:45]
	v_fma_f64 v[32:33], v[32:33], v[56:57], -v[42:43]
	v_fmac_f64_e32 v[32:33], s[20:21], v[54:55]
	v_add_f64 v[32:33], v[36:37], -v[32:33]
	v_xor_b32_e32 v9, 0x80000000, v33
	v_cndmask_b32_e32 v9, v9, v47, vcc
	v_and_b32_e32 v10, 0x80000000, v10
	v_fma_f64 v[50:51], s[86:87], v[96:97], v[2:3]
	v_cmp_class_f64_e64 s[0:1], v[60:61], s36
	v_cndmask_b32_e32 v11, v32, v46, vcc
	v_xor_b32_e32 v9, v9, v10
	v_fmac_f64_e32 v[50:51], s[88:89], v[120:121]
	v_cndmask_b32_e64 v32, 0, v11, s[0:1]
	v_cndmask_b32_e64 v33, v126, v9, s[0:1]
	v_mul_f64 v[72:73], v[50:51], v[50:51]
	v_mul_f64 v[10:11], v[32:33], v[32:33]
	v_fma_f64 v[54:55], v[6:7], v[10:11], v[72:73]
	v_div_scale_f64 v[10:11], s[2:3], v[54:55], v[54:55], 1.0
	v_rcp_f64_e32 v[36:37], v[10:11]
	v_mul_f64 v[12:13], v[12:13], v[62:63]
	v_fma_f64 v[38:39], s[86:87], v[100:101], v[24:25]
	v_mul_f64 v[12:13], v[98:99], v[12:13]
	v_fma_f64 v[42:43], -v[10:11], v[36:37], 1.0
	v_fmac_f64_e32 v[36:37], v[36:37], v[42:43]
	v_fma_f64 v[42:43], -v[10:11], v[36:37], 1.0
	v_fmac_f64_e32 v[36:37], v[36:37], v[42:43]
	v_div_scale_f64 v[42:43], vcc, 1.0, v[54:55], 1.0
	v_mul_f64 v[44:45], v[42:43], v[36:37]
	v_fma_f64 v[10:11], -v[10:11], v[44:45], v[42:43]
	v_fmac_f64_e32 v[38:39], s[88:89], v[12:13]
	s_nop 0
	v_div_fmas_f64 v[10:11], v[10:11], v[36:37], v[44:45]
	v_div_fixup_f64 v[74:75], v[10:11], v[54:55], 1.0
	s_mov_b32 s92, s88
	v_mul_f64 v[10:11], v[74:75], -v[38:39]
	v_fmac_f64_e32 v[18:19], s[92:93], v[14:15]
	v_mul_f64 v[86:87], v[98:99], v[10:11]
	s_mov_b32 s94, s86
	v_fmac_f64_e32 v[18:19], s[94:95], v[86:87]
	v_cmp_nlt_f64_e64 s[6:7], |v[18:19]|, s[4:5]
	v_trig_preop_f64 v[44:45], |v[18:19]|, 0
	v_trig_preop_f64 v[56:57], |v[18:19]|, 1
	v_ldexp_f64 v[46:47], |v[18:19]|, s33
	v_trig_preop_f64 v[38:39], |v[18:19]|, 2
	v_and_b32_e32 v58, 0x7fffffff, v19
                                        ; implicit-def: $vgpr90
                                        ; implicit-def: $vgpr78_vgpr79
                                        ; implicit-def: $vgpr10_vgpr11
	s_and_saveexec_b64 s[2:3], s[6:7]
	s_xor_b64 s[22:23], exec, s[2:3]
	s_cbranch_execz .LBB0_108
; %bb.107:                              ;   in Loop: Header=BB0_90 Depth=2
	v_cmp_ge_f64_e64 vcc, |v[18:19]|, s[64:65]
	v_cndmask_b32_e32 v11, v58, v47, vcc
	v_cndmask_b32_e32 v10, v18, v46, vcc
	v_mul_f64 v[42:43], v[44:45], v[10:11]
	v_mul_f64 v[36:37], v[56:57], v[10:11]
	v_fma_f64 v[76:77], v[44:45], v[10:11], -v[42:43]
	v_add_f64 v[78:79], v[36:37], v[76:77]
	v_add_f64 v[80:81], v[42:43], v[78:79]
	v_ldexp_f64 v[82:83], v[80:81], -2
	v_fract_f64_e32 v[84:85], v[82:83]
	v_cmp_neq_f64_e64 vcc, |v[82:83]|, s[34:35]
	v_cndmask_b32_e32 v83, 0, v85, vcc
	v_cndmask_b32_e32 v82, 0, v84, vcc
	v_add_f64 v[84:85], v[78:79], -v[36:37]
	v_add_f64 v[76:77], v[76:77], -v[84:85]
	;; [unrolled: 1-line block ×4, first 2 shown]
	v_add_f64 v[76:77], v[76:77], v[84:85]
	v_fma_f64 v[36:37], v[56:57], v[10:11], -v[36:37]
	v_mul_f64 v[84:85], v[38:39], v[10:11]
	v_add_f64 v[88:89], v[84:85], v[36:37]
	v_add_f64 v[90:91], v[88:89], v[76:77]
	v_add_f64 v[42:43], v[80:81], -v[42:43]
	v_add_f64 v[80:81], v[90:91], -v[88:89]
	;; [unrolled: 1-line block ×5, first 2 shown]
	v_add_f64 v[76:77], v[76:77], v[80:81]
	v_add_f64 v[80:81], v[88:89], -v[84:85]
	v_add_f64 v[36:37], v[36:37], -v[80:81]
	;; [unrolled: 1-line block ×5, first 2 shown]
	v_add_f64 v[78:79], v[42:43], v[90:91]
	v_add_f64 v[36:37], v[36:37], v[80:81]
	v_add_f64 v[42:43], v[78:79], -v[42:43]
	v_add_f64 v[36:37], v[36:37], v[76:77]
	v_fma_f64 v[10:11], v[38:39], v[10:11], -v[84:85]
	v_add_f64 v[42:43], v[90:91], -v[42:43]
	v_add_f64 v[10:11], v[10:11], v[36:37]
	v_ldexp_f64 v[36:37], v[82:83], 2
	v_add_f64 v[10:11], v[42:43], v[10:11]
	v_add_f64 v[42:43], v[78:79], v[36:37]
	v_cmp_gt_f64_e32 vcc, 0, v[42:43]
	v_mov_b32_e32 v4, 0x40100000
	v_cndmask_b32_e32 v9, 0, v4, vcc
	v_add_f64 v[36:37], v[36:37], v[8:9]
	v_add_f64 v[42:43], v[78:79], v[36:37]
	v_cvt_i32_f64_e32 v9, v[42:43]
	v_cvt_f64_i32_e32 v[42:43], v9
	v_add_f64 v[36:37], v[36:37], -v[42:43]
	v_add_f64 v[42:43], v[78:79], v[36:37]
	v_add_f64 v[36:37], v[42:43], -v[36:37]
	v_cmp_le_f64_e32 vcc, 0.5, v[42:43]
	v_add_f64 v[36:37], v[78:79], -v[36:37]
	v_addc_co_u32_e64 v90, s[2:3], 0, v9, vcc
	v_cndmask_b32_e32 v9, 0, v104, vcc
	v_add_f64 v[10:11], v[10:11], v[36:37]
	v_add_f64 v[36:37], v[42:43], -v[8:9]
	v_add_f64 v[42:43], v[36:37], v[10:11]
	v_add_f64 v[36:37], v[42:43], -v[36:37]
	s_mov_b32 s66, s68
	v_add_f64 v[10:11], v[10:11], -v[36:37]
	v_mul_f64 v[36:37], v[42:43], s[66:67]
	v_fma_f64 v[76:77], v[42:43], s[66:67], -v[36:37]
	s_mov_b32 s73, s71
	v_fmac_f64_e32 v[76:77], s[72:73], v[42:43]
	v_fmac_f64_e32 v[76:77], s[66:67], v[10:11]
	v_add_f64 v[78:79], v[36:37], v[76:77]
	v_add_f64 v[10:11], v[78:79], -v[36:37]
	v_add_f64 v[10:11], v[76:77], -v[10:11]
	s_andn2_saveexec_b64 s[2:3], s[22:23]
	s_cbranch_execz .LBB0_110
	s_branch .LBB0_109
.LBB0_108:                              ;   in Loop: Header=BB0_90 Depth=2
	s_andn2_saveexec_b64 s[2:3], s[22:23]
	s_cbranch_execz .LBB0_110
.LBB0_109:                              ;   in Loop: Header=BB0_90 Depth=2
	v_mul_f64 v[10:11], |v[18:19]|, s[74:75]
	v_rndne_f64_e32 v[36:37], v[10:11]
	v_fma_f64 v[10:11], v[36:37], s[68:69], |v[18:19]|
	v_mul_f64 v[76:77], v[36:37], s[76:77]
	v_add_f64 v[80:81], v[10:11], v[76:77]
	v_fma_f64 v[42:43], s[76:77], v[36:37], v[10:11]
	s_mov_b32 s70, s76
	v_add_f64 v[10:11], v[10:11], -v[80:81]
	v_fma_f64 v[78:79], s[70:71], v[36:37], v[76:77]
	v_add_f64 v[10:11], v[10:11], v[76:77]
	v_add_f64 v[76:77], v[80:81], -v[42:43]
	v_add_f64 v[10:11], v[76:77], v[10:11]
	v_add_f64 v[10:11], v[10:11], -v[78:79]
	v_fmac_f64_e32 v[10:11], s[78:79], v[36:37]
	v_add_f64 v[78:79], v[42:43], v[10:11]
	v_add_f64 v[42:43], v[78:79], -v[42:43]
	v_add_f64 v[10:11], v[10:11], -v[42:43]
	v_cvt_i32_f64_e32 v90, v[36:37]
.LBB0_110:                              ;   in Loop: Header=BB0_90 Depth=2
	s_or_b64 exec, exec, s[2:3]
                                        ; implicit-def: $vgpr60
                                        ; implicit-def: $vgpr36_vgpr37
                                        ; implicit-def: $vgpr42_vgpr43
	s_and_saveexec_b64 s[2:3], s[6:7]
	s_xor_b64 s[6:7], exec, s[2:3]
	s_cbranch_execz .LBB0_112
; %bb.111:                              ;   in Loop: Header=BB0_90 Depth=2
	v_cmp_ge_f64_e64 vcc, |v[18:19]|, s[64:65]
	v_cndmask_b32_e32 v37, v58, v47, vcc
	v_cndmask_b32_e32 v36, v18, v46, vcc
	v_mul_f64 v[46:47], v[44:45], v[36:37]
	v_mul_f64 v[42:43], v[56:57], v[36:37]
	v_fma_f64 v[44:45], v[44:45], v[36:37], -v[46:47]
	v_add_f64 v[58:59], v[42:43], v[44:45]
	v_add_f64 v[76:77], v[46:47], v[58:59]
	v_ldexp_f64 v[80:81], v[76:77], -2
	v_fract_f64_e32 v[82:83], v[80:81]
	v_cmp_neq_f64_e64 vcc, |v[80:81]|, s[34:35]
	v_cndmask_b32_e32 v81, 0, v83, vcc
	v_cndmask_b32_e32 v80, 0, v82, vcc
	v_add_f64 v[82:83], v[58:59], -v[42:43]
	v_add_f64 v[44:45], v[44:45], -v[82:83]
	;; [unrolled: 1-line block ×4, first 2 shown]
	v_fma_f64 v[42:43], v[56:57], v[36:37], -v[42:43]
	v_mul_f64 v[56:57], v[38:39], v[36:37]
	v_add_f64 v[44:45], v[44:45], v[82:83]
	v_add_f64 v[82:83], v[56:57], v[42:43]
	;; [unrolled: 1-line block ×3, first 2 shown]
	v_add_f64 v[46:47], v[76:77], -v[46:47]
	v_add_f64 v[76:77], v[84:85], -v[82:83]
	;; [unrolled: 1-line block ×5, first 2 shown]
	v_add_f64 v[44:45], v[44:45], v[76:77]
	v_add_f64 v[76:77], v[82:83], -v[56:57]
	v_add_f64 v[42:43], v[42:43], -v[76:77]
	;; [unrolled: 1-line block ×5, first 2 shown]
	v_add_f64 v[42:43], v[42:43], v[76:77]
	v_add_f64 v[58:59], v[46:47], v[84:85]
	;; [unrolled: 1-line block ×3, first 2 shown]
	v_fma_f64 v[36:37], v[38:39], v[36:37], -v[56:57]
	v_ldexp_f64 v[38:39], v[80:81], 2
	v_add_f64 v[36:37], v[36:37], v[42:43]
	v_add_f64 v[42:43], v[58:59], v[38:39]
	v_cmp_gt_f64_e32 vcc, 0, v[42:43]
	v_mov_b32_e32 v4, 0x40100000
	v_cndmask_b32_e32 v9, 0, v4, vcc
	v_add_f64 v[38:39], v[38:39], v[8:9]
	v_add_f64 v[42:43], v[58:59], v[38:39]
	v_cvt_i32_f64_e32 v9, v[42:43]
	v_cvt_f64_i32_e32 v[42:43], v9
	v_add_f64 v[38:39], v[38:39], -v[42:43]
	v_add_f64 v[46:47], v[58:59], -v[46:47]
	v_add_f64 v[42:43], v[58:59], v[38:39]
	v_add_f64 v[46:47], v[84:85], -v[46:47]
	v_add_f64 v[38:39], v[42:43], -v[38:39]
	v_cmp_le_f64_e32 vcc, 0.5, v[42:43]
	v_add_f64 v[36:37], v[46:47], v[36:37]
	v_add_f64 v[38:39], v[58:59], -v[38:39]
	v_addc_co_u32_e64 v60, s[2:3], 0, v9, vcc
	v_cndmask_b32_e32 v9, 0, v104, vcc
	v_add_f64 v[36:37], v[36:37], v[38:39]
	v_add_f64 v[38:39], v[42:43], -v[8:9]
	v_add_f64 v[42:43], v[38:39], v[36:37]
	v_add_f64 v[38:39], v[42:43], -v[38:39]
	s_mov_b32 s66, s68
	v_add_f64 v[36:37], v[36:37], -v[38:39]
	v_mul_f64 v[38:39], v[42:43], s[66:67]
	v_fma_f64 v[44:45], v[42:43], s[66:67], -v[38:39]
	s_mov_b32 s73, s71
	v_fmac_f64_e32 v[44:45], s[72:73], v[42:43]
	v_fmac_f64_e32 v[44:45], s[66:67], v[36:37]
	v_add_f64 v[36:37], v[38:39], v[44:45]
	v_add_f64 v[38:39], v[36:37], -v[38:39]
	v_add_f64 v[42:43], v[44:45], -v[38:39]
	s_or_saveexec_b64 s[2:3], s[6:7]
	v_add_f64 v[44:45], v[0:1], v[0:1]
	s_xor_b64 exec, exec, s[2:3]
	s_cbranch_execnz .LBB0_113
	s_branch .LBB0_114
.LBB0_112:                              ;   in Loop: Header=BB0_90 Depth=2
	s_or_saveexec_b64 s[2:3], s[6:7]
	v_add_f64 v[44:45], v[0:1], v[0:1]
	s_xor_b64 exec, exec, s[2:3]
	s_cbranch_execz .LBB0_114
.LBB0_113:                              ;   in Loop: Header=BB0_90 Depth=2
	v_mul_f64 v[36:37], |v[18:19]|, s[74:75]
	v_rndne_f64_e32 v[38:39], v[36:37]
	v_fma_f64 v[36:37], v[38:39], s[68:69], |v[18:19]|
	v_mul_f64 v[46:47], v[38:39], s[76:77]
	v_add_f64 v[58:59], v[36:37], v[46:47]
	v_fma_f64 v[42:43], s[76:77], v[38:39], v[36:37]
	s_mov_b32 s70, s76
	v_add_f64 v[36:37], v[36:37], -v[58:59]
	v_fma_f64 v[56:57], s[70:71], v[38:39], v[46:47]
	v_add_f64 v[36:37], v[36:37], v[46:47]
	v_add_f64 v[46:47], v[58:59], -v[42:43]
	v_add_f64 v[36:37], v[46:47], v[36:37]
	v_add_f64 v[46:47], v[36:37], -v[56:57]
	v_fmac_f64_e32 v[46:47], s[78:79], v[38:39]
	v_add_f64 v[36:37], v[42:43], v[46:47]
	v_add_f64 v[42:43], v[36:37], -v[42:43]
	v_add_f64 v[42:43], v[46:47], -v[42:43]
	v_cvt_i32_f64_e32 v60, v[38:39]
.LBB0_114:                              ;   in Loop: Header=BB0_90 Depth=2
	s_or_b64 exec, exec, s[2:3]
	v_mul_f64 v[34:35], v[34:35], v[64:65]
	v_div_scale_f64 v[46:47], s[2:3], v[34:35], v[34:35], 1.0
	v_rcp_f64_e32 v[64:65], v[46:47]
	buffer_load_dword v4, off, s[96:99], 0  ; 4-byte Folded Reload
	buffer_load_dword v5, off, s[96:99], 0 offset:4 ; 4-byte Folded Reload
	v_add_f64 v[0:1], v[0:1], -1.0
	s_mov_b32 s2, 0xb42fdfa7
	v_fma_f64 v[76:77], -v[46:47], v[64:65], 1.0
	v_fmac_f64_e32 v[64:65], v[64:65], v[76:77]
	v_fma_f64 v[76:77], -v[46:47], v[64:65], 1.0
	v_fmac_f64_e32 v[64:65], v[64:65], v[76:77]
	v_div_scale_f64 v[76:77], vcc, 1.0, v[34:35], 1.0
	v_mul_f64 v[80:81], v[76:77], v[64:65]
	v_fma_f64 v[46:47], -v[46:47], v[80:81], v[76:77]
	s_mov_b32 s3, 0xbe5ae600
	s_nop 0
	v_div_fmas_f64 v[46:47], v[46:47], v[64:65], v[80:81]
	v_div_fixup_f64 v[34:35], v[46:47], v[34:35], 1.0
	v_add_f64 v[46:47], v[6:7], v[52:53]
	v_mul_f64 v[52:53], v[108:109], v[0:1]
	v_fma_f64 v[44:45], v[44:45], v[46:47], -v[52:53]
	v_add_f64 v[46:47], v[68:69], v[68:69]
	v_mul_f64 v[46:47], v[68:69], v[46:47]
	v_mul_f64 v[0:1], v[0:1], v[46:47]
	v_add_f64 v[44:45], v[44:45], -v[102:103]
	v_mul_f64 v[0:1], v[0:1], v[62:63]
	v_fma_f64 v[0:1], v[44:45], v[34:35], -v[0:1]
	v_mul_f64 v[52:53], v[98:99], -v[0:1]
	v_and_b32_e32 v0, 1, v70
	v_cmp_eq_u32_e32 vcc, 0, v0
	v_mul_f64 v[34:35], v[30:31], v[30:31]
	v_pk_mov_b32 v[0:1], s[2:3], s[2:3] op_sel:[0,1]
	v_fma_f64 v[46:47], s[24:25], v[34:35], v[0:1]
	v_fma_f64 v[46:47], v[34:35], v[46:47], s[26:27]
	;; [unrolled: 1-line block ×3, first 2 shown]
	s_mov_b32 s2, 0x9037ab78
	v_mul_f64 v[44:45], v[30:31], -v[34:35]
	v_fma_f64 v[46:47], v[34:35], v[46:47], s[30:31]
	v_mul_f64 v[62:63], v[66:67], 0.5
	s_mov_b32 s3, 0x3e21eeb6
	v_fmac_f64_e32 v[62:63], v[44:45], v[46:47]
	v_pk_mov_b32 v[68:69], s[2:3], s[2:3] op_sel:[0,1]
	v_fma_f64 v[46:47], v[34:35], v[62:63], -v[66:67]
	v_fma_f64 v[76:77], s[8:9], v[34:35], v[68:69]
	v_fmac_f64_e32 v[46:47], s[20:21], v[44:45]
	v_fma_f64 v[76:77], v[34:35], v[76:77], s[10:11]
	v_add_f64 v[44:45], v[30:31], -v[46:47]
	v_mul_f64 v[46:47], v[34:35], 0.5
	v_fma_f64 v[76:77], v[34:35], v[76:77], s[14:15]
	v_add_f64 v[62:63], -v[46:47], 1.0
	v_fma_f64 v[76:77], v[34:35], v[76:77], s[16:17]
	v_mul_f64 v[64:65], v[34:35], v[34:35]
	v_fma_f64 v[34:35], v[34:35], v[76:77], s[18:19]
	v_add_f64 v[76:77], -v[62:63], 1.0
	v_add_f64 v[46:47], v[76:77], -v[46:47]
	v_fma_f64 v[30:31], v[30:31], -v[66:67], v[46:47]
	v_fmac_f64_e32 v[30:31], v[64:65], v[34:35]
	v_lshlrev_b32_e32 v17, 30, v70
	v_add_f64 v[30:31], v[62:63], v[30:31]
	v_xor_b32_e32 v17, v17, v61
	v_cndmask_b32_e32 v16, v31, v45, vcc
	v_and_b32_e32 v17, 0x80000000, v17
	v_cndmask_b32_e32 v9, v30, v44, vcc
	v_xor_b32_e32 v16, v16, v17
	v_cndmask_b32_e64 v30, 0, v9, s[0:1]
	v_cndmask_b32_e64 v31, v126, v16, s[0:1]
	v_mul_f64 v[34:35], v[30:31], v[30:31]
	v_cmp_gt_f64_e32 vcc, s[80:81], v[30:31]
	v_cndmask_b32_e32 v65, v35, v106, vcc
	v_cndmask_b32_e32 v64, v34, v110, vcc
	;; [unrolled: 1-line block ×4, first 2 shown]
	v_mul_f64 v[30:31], -v[30:31], v[32:33]
	v_mul_f64 v[32:33], v[64:65], v[64:65]
	v_div_scale_f64 v[46:47], s[0:1], v[32:33], v[32:33], v[26:27]
	v_rcp_f64_e32 v[62:63], v[46:47]
	v_fma_f64 v[88:89], s[86:87], v[116:117], v[20:21]
	v_fma_f64 v[34:35], -2.0, v[50:51], v[72:73]
	v_fmac_f64_e32 v[88:89], s[88:89], v[52:53]
	v_fma_f64 v[66:67], -v[46:47], v[62:63], 1.0
	v_fmac_f64_e32 v[62:63], v[62:63], v[66:67]
	v_fma_f64 v[66:67], -v[46:47], v[62:63], 1.0
	v_fmac_f64_e32 v[62:63], v[62:63], v[66:67]
	v_div_scale_f64 v[66:67], vcc, v[26:27], v[32:33], v[26:27]
	v_mul_f64 v[70:71], v[66:67], v[62:63]
	v_fma_f64 v[46:47], -v[46:47], v[70:71], v[66:67]
	v_add_f64 v[34:35], v[6:7], v[34:35]
	s_nop 0
	v_div_fmas_f64 v[46:47], v[46:47], v[62:63], v[70:71]
	v_div_fixup_f64 v[32:33], v[46:47], v[32:33], v[26:27]
	v_add_f64 v[32:33], v[32:33], -v[6:7]
	v_mul_f64 v[30:31], v[32:33], v[30:31]
	v_mul_f64 v[30:31], v[30:31], v[74:75]
	v_mul_f64 v[44:45], v[34:35], -v[88:89]
	v_mul_f64 v[122:123], v[98:99], v[30:31]
	v_mul_f64 v[30:31], v[36:37], v[36:37]
	;; [unrolled: 1-line block ×3, first 2 shown]
	v_mul_f64 v[32:33], v[30:31], 0.5
	v_fma_f64 v[62:63], s[8:9], v[30:31], v[68:69]
	v_mul_f64 v[124:125], v[98:99], v[44:45]
	v_add_f64 v[44:45], -v[32:33], 1.0
	v_fma_f64 v[62:63], v[30:31], v[62:63], s[10:11]
	v_add_f64 v[46:47], -v[44:45], 1.0
	v_fma_f64 v[62:63], v[30:31], v[62:63], s[14:15]
	v_add_f64 v[32:33], v[46:47], -v[32:33]
	v_fma_f64 v[62:63], v[30:31], v[62:63], s[16:17]
	v_fma_f64 v[0:1], s[24:25], v[30:31], v[0:1]
	v_mul_f64 v[46:47], v[30:31], v[30:31]
	v_fma_f64 v[62:63], v[30:31], v[62:63], s[18:19]
	v_fma_f64 v[32:33], v[36:37], -v[42:43], v[32:33]
	v_fma_f64 v[0:1], v[30:31], v[0:1], s[26:27]
	v_fmac_f64_e32 v[32:33], v[46:47], v[62:63]
	v_fma_f64 v[0:1], v[30:31], v[0:1], s[28:29]
	v_add_f64 v[32:33], v[44:45], v[32:33]
	v_fma_f64 v[0:1], v[30:31], v[0:1], s[30:31]
	v_mul_f64 v[44:45], v[36:37], -v[30:31]
	v_mul_f64 v[46:47], v[42:43], 0.5
	v_fmac_f64_e32 v[46:47], v[44:45], v[0:1]
	v_fma_f64 v[0:1], v[30:31], v[46:47], -v[42:43]
	v_fmac_f64_e32 v[0:1], s[20:21], v[44:45]
	v_add_f64 v[0:1], v[36:37], -v[0:1]
	v_and_b32_e32 v9, 1, v60
	s_mov_b32 s90, s86
	v_xor_b32_e32 v1, 0x80000000, v1
	v_cmp_eq_u32_e32 vcc, 0, v9
	v_lshlrev_b32_e32 v9, 30, v60
	v_fma_f64 v[56:57], s[90:91], v[96:97], v[2:3]
	s_mov_b32 s92, s88
	v_cndmask_b32_e32 v1, v1, v33, vcc
	v_and_b32_e32 v9, 0x80000000, v9
	v_fmac_f64_e32 v[56:57], s[92:93], v[120:121]
	s_mov_b32 s94, s86
	v_cmp_class_f64_e64 s[0:1], v[18:19], s36
	v_cndmask_b32_e32 v0, v0, v32, vcc
	v_xor_b32_e32 v1, v1, v9
	v_fmac_f64_e32 v[56:57], s[94:95], v[124:125]
	v_cndmask_b32_e64 v32, 0, v0, s[0:1]
	v_cndmask_b32_e64 v33, v126, v1, s[0:1]
	v_mul_f64 v[60:61], v[56:57], v[56:57]
	v_mul_f64 v[0:1], v[32:33], v[32:33]
	v_fma_f64 v[66:67], v[6:7], v[0:1], v[60:61]
	v_div_scale_f64 v[0:1], s[2:3], v[66:67], v[66:67], 1.0
	v_rcp_f64_e32 v[30:31], v[0:1]
	v_fma_f64 v[38:39], s[90:91], v[100:101], v[24:25]
	v_fmac_f64_e32 v[38:39], s[92:93], v[12:13]
	s_waitcnt vmcnt(0)
	v_fma_f64 v[58:59], s[40:41], v[48:49], v[4:5]
	v_fma_f64 v[36:37], -v[0:1], v[30:31], 1.0
	v_fmac_f64_e32 v[30:31], v[30:31], v[36:37]
	v_fma_f64 v[36:37], -v[0:1], v[30:31], 1.0
	v_fmac_f64_e32 v[30:31], v[30:31], v[36:37]
	v_div_scale_f64 v[36:37], vcc, 1.0, v[66:67], 1.0
	v_mul_f64 v[42:43], v[36:37], v[30:31]
	v_fma_f64 v[0:1], -v[0:1], v[42:43], v[36:37]
	v_fmac_f64_e32 v[38:39], s[94:95], v[122:123]
	s_nop 0
	v_div_fmas_f64 v[0:1], v[0:1], v[30:31], v[42:43]
	v_div_fixup_f64 v[62:63], v[0:1], v[66:67], 1.0
	v_fmac_f64_e32 v[58:59], 0x40040000, v[14:15]
	v_mul_f64 v[0:1], v[62:63], -v[38:39]
	v_fmac_f64_e32 v[58:59], s[50:51], v[86:87]
	v_mul_f64 v[118:119], v[98:99], v[0:1]
	s_mov_b32 s48, s50
	v_fmac_f64_e32 v[58:59], s[48:49], v[118:119]
	v_cmp_nlt_f64_e64 s[6:7], |v[58:59]|, s[4:5]
	v_trig_preop_f64 v[44:45], |v[58:59]|, 0
	v_trig_preop_f64 v[36:37], |v[58:59]|, 1
	v_ldexp_f64 v[46:47], |v[58:59]|, s33
	v_trig_preop_f64 v[30:31], |v[58:59]|, 2
	v_and_b32_e32 v18, 0x7fffffff, v59
                                        ; implicit-def: $vgpr105
                                        ; implicit-def: $vgpr70_vgpr71
                                        ; implicit-def: $vgpr80_vgpr81
	s_and_saveexec_b64 s[2:3], s[6:7]
	s_xor_b64 s[22:23], exec, s[2:3]
	s_cbranch_execz .LBB0_116
; %bb.115:                              ;   in Loop: Header=BB0_90 Depth=2
	v_cmp_ge_f64_e64 vcc, |v[58:59]|, s[64:65]
	v_cndmask_b32_e32 v39, v18, v47, vcc
	v_cndmask_b32_e32 v38, v58, v46, vcc
	v_mul_f64 v[68:69], v[44:45], v[38:39]
	v_mul_f64 v[42:43], v[36:37], v[38:39]
	v_fma_f64 v[70:71], v[44:45], v[38:39], -v[68:69]
	v_add_f64 v[76:77], v[42:43], v[70:71]
	v_add_f64 v[80:81], v[68:69], v[76:77]
	v_ldexp_f64 v[82:83], v[80:81], -2
	v_fract_f64_e32 v[84:85], v[82:83]
	v_cmp_neq_f64_e64 vcc, |v[82:83]|, s[34:35]
	v_cndmask_b32_e32 v83, 0, v85, vcc
	v_cndmask_b32_e32 v82, 0, v84, vcc
	v_add_f64 v[84:85], v[76:77], -v[42:43]
	v_add_f64 v[70:71], v[70:71], -v[84:85]
	;; [unrolled: 1-line block ×4, first 2 shown]
	v_add_f64 v[70:71], v[70:71], v[84:85]
	v_fma_f64 v[42:43], v[36:37], v[38:39], -v[42:43]
	v_mul_f64 v[84:85], v[30:31], v[38:39]
	v_add_f64 v[92:93], v[84:85], v[42:43]
	v_add_f64 v[94:95], v[92:93], v[70:71]
	v_add_f64 v[68:69], v[80:81], -v[68:69]
	v_add_f64 v[80:81], v[94:95], -v[92:93]
	;; [unrolled: 1-line block ×5, first 2 shown]
	v_add_f64 v[70:71], v[70:71], v[80:81]
	v_add_f64 v[80:81], v[92:93], -v[84:85]
	v_add_f64 v[42:43], v[42:43], -v[80:81]
	;; [unrolled: 1-line block ×5, first 2 shown]
	v_add_f64 v[76:77], v[68:69], v[94:95]
	v_add_f64 v[42:43], v[42:43], v[80:81]
	v_add_f64 v[68:69], v[76:77], -v[68:69]
	v_add_f64 v[42:43], v[42:43], v[70:71]
	v_fma_f64 v[38:39], v[30:31], v[38:39], -v[84:85]
	v_add_f64 v[68:69], v[94:95], -v[68:69]
	v_add_f64 v[38:39], v[38:39], v[42:43]
	v_ldexp_f64 v[42:43], v[82:83], 2
	v_add_f64 v[38:39], v[68:69], v[38:39]
	v_add_f64 v[68:69], v[76:77], v[42:43]
	v_cmp_gt_f64_e32 vcc, 0, v[68:69]
	v_mov_b32_e32 v0, 0x40100000
	v_cndmask_b32_e32 v9, 0, v0, vcc
	v_add_f64 v[42:43], v[42:43], v[8:9]
	v_add_f64 v[68:69], v[76:77], v[42:43]
	v_cvt_i32_f64_e32 v9, v[68:69]
	v_cvt_f64_i32_e32 v[68:69], v9
	v_add_f64 v[42:43], v[42:43], -v[68:69]
	v_add_f64 v[68:69], v[76:77], v[42:43]
	v_add_f64 v[42:43], v[68:69], -v[42:43]
	v_cmp_le_f64_e32 vcc, 0.5, v[68:69]
	v_add_f64 v[42:43], v[76:77], -v[42:43]
	v_addc_co_u32_e64 v105, s[2:3], 0, v9, vcc
	v_cndmask_b32_e32 v9, 0, v104, vcc
	v_add_f64 v[38:39], v[38:39], v[42:43]
	v_add_f64 v[42:43], v[68:69], -v[8:9]
	v_add_f64 v[68:69], v[42:43], v[38:39]
	v_add_f64 v[42:43], v[68:69], -v[42:43]
	s_mov_b32 s66, s68
	v_add_f64 v[38:39], v[38:39], -v[42:43]
	v_mul_f64 v[42:43], v[68:69], s[66:67]
	v_fma_f64 v[76:77], v[68:69], s[66:67], -v[42:43]
	s_mov_b32 s73, s71
	v_fmac_f64_e32 v[76:77], s[72:73], v[68:69]
	v_fmac_f64_e32 v[76:77], s[66:67], v[38:39]
	v_add_f64 v[70:71], v[42:43], v[76:77]
	v_add_f64 v[38:39], v[70:71], -v[42:43]
	v_add_f64 v[80:81], v[76:77], -v[38:39]
	s_andn2_saveexec_b64 s[2:3], s[22:23]
	s_cbranch_execz .LBB0_118
	s_branch .LBB0_117
.LBB0_116:                              ;   in Loop: Header=BB0_90 Depth=2
	s_andn2_saveexec_b64 s[2:3], s[22:23]
	s_cbranch_execz .LBB0_118
.LBB0_117:                              ;   in Loop: Header=BB0_90 Depth=2
	v_mul_f64 v[38:39], |v[58:59]|, s[74:75]
	v_rndne_f64_e32 v[38:39], v[38:39]
	v_fma_f64 v[42:43], v[38:39], s[68:69], |v[58:59]|
	v_mul_f64 v[70:71], v[38:39], s[76:77]
	v_add_f64 v[80:81], v[42:43], v[70:71]
	v_fma_f64 v[68:69], s[76:77], v[38:39], v[42:43]
	s_mov_b32 s70, s76
	v_add_f64 v[42:43], v[42:43], -v[80:81]
	v_fma_f64 v[76:77], s[70:71], v[38:39], v[70:71]
	v_add_f64 v[42:43], v[42:43], v[70:71]
	v_add_f64 v[70:71], v[80:81], -v[68:69]
	v_add_f64 v[42:43], v[70:71], v[42:43]
	v_add_f64 v[42:43], v[42:43], -v[76:77]
	v_fmac_f64_e32 v[42:43], s[78:79], v[38:39]
	v_add_f64 v[70:71], v[68:69], v[42:43]
	v_add_f64 v[68:69], v[70:71], -v[68:69]
	v_add_f64 v[80:81], v[42:43], -v[68:69]
	v_cvt_i32_f64_e32 v105, v[38:39]
.LBB0_118:                              ;   in Loop: Header=BB0_90 Depth=2
	s_or_b64 exec, exec, s[2:3]
                                        ; implicit-def: $vgpr91
                                        ; implicit-def: $vgpr38_vgpr39
                                        ; implicit-def: $vgpr42_vgpr43
	s_and_saveexec_b64 s[2:3], s[6:7]
	s_xor_b64 s[6:7], exec, s[2:3]
	s_cbranch_execz .LBB0_120
; %bb.119:                              ;   in Loop: Header=BB0_90 Depth=2
	v_cmp_ge_f64_e64 vcc, |v[58:59]|, s[64:65]
	v_cndmask_b32_e32 v39, v18, v47, vcc
	v_cndmask_b32_e32 v38, v58, v46, vcc
	v_mul_f64 v[46:47], v[44:45], v[38:39]
	v_mul_f64 v[42:43], v[36:37], v[38:39]
	v_fma_f64 v[44:45], v[44:45], v[38:39], -v[46:47]
	v_add_f64 v[68:69], v[42:43], v[44:45]
	v_add_f64 v[76:77], v[46:47], v[68:69]
	v_ldexp_f64 v[82:83], v[76:77], -2
	v_fract_f64_e32 v[84:85], v[82:83]
	v_cmp_neq_f64_e64 vcc, |v[82:83]|, s[34:35]
	v_cndmask_b32_e32 v83, 0, v85, vcc
	v_cndmask_b32_e32 v82, 0, v84, vcc
	v_add_f64 v[84:85], v[68:69], -v[42:43]
	v_add_f64 v[44:45], v[44:45], -v[84:85]
	;; [unrolled: 1-line block ×4, first 2 shown]
	v_fma_f64 v[36:37], v[36:37], v[38:39], -v[42:43]
	v_mul_f64 v[42:43], v[30:31], v[38:39]
	v_add_f64 v[44:45], v[44:45], v[84:85]
	v_add_f64 v[84:85], v[42:43], v[36:37]
	;; [unrolled: 1-line block ×3, first 2 shown]
	v_add_f64 v[46:47], v[76:77], -v[46:47]
	v_add_f64 v[76:77], v[92:93], -v[84:85]
	v_add_f64 v[44:45], v[44:45], -v[76:77]
	v_add_f64 v[76:77], v[92:93], -v[76:77]
	v_add_f64 v[76:77], v[84:85], -v[76:77]
	v_add_f64 v[44:45], v[44:45], v[76:77]
	v_add_f64 v[76:77], v[84:85], -v[42:43]
	v_add_f64 v[36:37], v[36:37], -v[76:77]
	;; [unrolled: 1-line block ×4, first 2 shown]
	v_add_f64 v[36:37], v[36:37], v[76:77]
	v_add_f64 v[46:47], v[68:69], -v[46:47]
	v_add_f64 v[36:37], v[36:37], v[44:45]
	v_fma_f64 v[30:31], v[30:31], v[38:39], -v[42:43]
	v_add_f64 v[68:69], v[46:47], v[92:93]
	v_add_f64 v[30:31], v[30:31], v[36:37]
	v_ldexp_f64 v[36:37], v[82:83], 2
	v_add_f64 v[38:39], v[68:69], v[36:37]
	v_cmp_gt_f64_e32 vcc, 0, v[38:39]
	v_mov_b32_e32 v0, 0x40100000
	v_cndmask_b32_e32 v9, 0, v0, vcc
	v_add_f64 v[36:37], v[36:37], v[8:9]
	v_add_f64 v[38:39], v[68:69], v[36:37]
	v_cvt_i32_f64_e32 v9, v[38:39]
	v_cvt_f64_i32_e32 v[38:39], v9
	v_add_f64 v[36:37], v[36:37], -v[38:39]
	v_add_f64 v[46:47], v[68:69], -v[46:47]
	v_add_f64 v[38:39], v[68:69], v[36:37]
	v_add_f64 v[46:47], v[92:93], -v[46:47]
	v_add_f64 v[36:37], v[38:39], -v[36:37]
	v_cmp_le_f64_e32 vcc, 0.5, v[38:39]
	v_add_f64 v[30:31], v[46:47], v[30:31]
	v_add_f64 v[36:37], v[68:69], -v[36:37]
	v_addc_co_u32_e64 v91, s[2:3], 0, v9, vcc
	v_cndmask_b32_e32 v9, 0, v104, vcc
	v_add_f64 v[30:31], v[30:31], v[36:37]
	v_add_f64 v[36:37], v[38:39], -v[8:9]
	v_add_f64 v[38:39], v[36:37], v[30:31]
	v_add_f64 v[36:37], v[38:39], -v[36:37]
	s_mov_b32 s66, s68
	v_add_f64 v[30:31], v[30:31], -v[36:37]
	v_mul_f64 v[36:37], v[38:39], s[66:67]
	v_fma_f64 v[42:43], v[38:39], s[66:67], -v[36:37]
	s_mov_b32 s73, s71
	v_fmac_f64_e32 v[42:43], s[72:73], v[38:39]
	v_fmac_f64_e32 v[42:43], s[66:67], v[30:31]
	v_add_f64 v[38:39], v[36:37], v[42:43]
	v_add_f64 v[30:31], v[38:39], -v[36:37]
	v_add_f64 v[42:43], v[42:43], -v[30:31]
	s_or_saveexec_b64 s[2:3], s[6:7]
	v_add_f64 v[76:77], v[50:51], v[50:51]
	s_xor_b64 exec, exec, s[2:3]
	s_cbranch_execnz .LBB0_121
	s_branch .LBB0_122
.LBB0_120:                              ;   in Loop: Header=BB0_90 Depth=2
	s_or_saveexec_b64 s[2:3], s[6:7]
	v_add_f64 v[76:77], v[50:51], v[50:51]
	s_xor_b64 exec, exec, s[2:3]
	s_cbranch_execz .LBB0_122
.LBB0_121:                              ;   in Loop: Header=BB0_90 Depth=2
	v_mul_f64 v[30:31], |v[58:59]|, s[74:75]
	v_rndne_f64_e32 v[30:31], v[30:31]
	v_fma_f64 v[36:37], v[30:31], s[68:69], |v[58:59]|
	v_mul_f64 v[38:39], v[30:31], s[76:77]
	v_add_f64 v[46:47], v[36:37], v[38:39]
	v_fma_f64 v[42:43], s[76:77], v[30:31], v[36:37]
	s_mov_b32 s70, s76
	v_add_f64 v[36:37], v[36:37], -v[46:47]
	v_fma_f64 v[44:45], s[70:71], v[30:31], v[38:39]
	v_add_f64 v[36:37], v[36:37], v[38:39]
	v_add_f64 v[38:39], v[46:47], -v[42:43]
	v_add_f64 v[36:37], v[38:39], v[36:37]
	v_add_f64 v[36:37], v[36:37], -v[44:45]
	v_fmac_f64_e32 v[36:37], s[78:79], v[30:31]
	v_add_f64 v[38:39], v[42:43], v[36:37]
	v_add_f64 v[42:43], v[38:39], -v[42:43]
	v_add_f64 v[42:43], v[36:37], -v[42:43]
	v_cvt_i32_f64_e32 v91, v[30:31]
.LBB0_122:                              ;   in Loop: Header=BB0_90 Depth=2
	s_or_b64 exec, exec, s[2:3]
	v_pk_mov_b32 v[4:5], v[2:3], v[2:3] op_sel:[0,1]
	v_fma_f64 v[82:83], s[40:41], v[96:97], v[2:3]
	buffer_load_dword v2, off, s[96:99], 0  ; 4-byte Folded Reload
	buffer_load_dword v3, off, s[96:99], 0 offset:4 ; 4-byte Folded Reload
	v_and_b32_e32 v9, 1, v90
	s_mov_b32 s90, s86
	v_fma_f64 v[30:31], s[90:91], v[116:117], v[20:21]
	s_mov_b32 s92, s88
	v_fmac_f64_e32 v[30:31], s[92:93], v[52:53]
	s_mov_b32 s94, s86
	v_fmac_f64_e32 v[82:83], 0x40040000, v[120:121]
	v_fmac_f64_e32 v[82:83], s[50:51], v[124:125]
	s_mov_b32 s48, s50
	v_fma_f64 v[94:95], s[40:41], v[100:101], v[24:25]
	v_fmac_f64_e32 v[94:95], 0x40040000, v[12:13]
	v_fmac_f64_e32 v[94:95], s[50:51], v[122:123]
	v_pk_mov_b32 v[22:23], v[102:103], v[102:103] op_sel:[0,1]
	s_waitcnt vmcnt(0)
	v_fma_f64 v[68:69], s[56:57], v[48:49], v[2:3]
	v_fmac_f64_e32 v[68:69], 0x3fd5e000, v[14:15]
	v_mul_f64 v[14:15], v[34:35], v[54:55]
	v_div_scale_f64 v[34:35], s[2:3], v[14:15], v[14:15], 1.0
	v_rcp_f64_e32 v[36:37], v[34:35]
	s_mov_b32 s2, 0xb42fdfa7
	s_mov_b32 s3, 0xbe5ae600
	v_fmac_f64_e32 v[68:69], s[58:59], v[86:87]
	v_fma_f64 v[44:45], -v[34:35], v[36:37], 1.0
	v_fmac_f64_e32 v[36:37], v[36:37], v[44:45]
	v_fma_f64 v[44:45], -v[34:35], v[36:37], 1.0
	v_fmac_f64_e32 v[36:37], v[36:37], v[44:45]
	v_div_scale_f64 v[44:45], vcc, 1.0, v[14:15], 1.0
	v_mul_f64 v[46:47], v[44:45], v[36:37]
	v_fma_f64 v[34:35], -v[34:35], v[46:47], v[44:45]
	v_pk_mov_b32 v[44:45], s[2:3], s[2:3] op_sel:[0,1]
	s_nop 0
	v_div_fmas_f64 v[34:35], v[34:35], v[36:37], v[46:47]
	v_div_fixup_f64 v[84:85], v[34:35], v[14:15], 1.0
	v_add_f64 v[14:15], v[6:7], v[72:73]
	v_add_f64 v[36:37], v[88:89], v[88:89]
	v_mul_f64 v[72:73], v[76:77], v[14:15]
	v_add_f64 v[14:15], v[50:51], -1.0
	v_mul_f64 v[36:37], v[88:89], v[36:37]
	v_fma_f64 v[34:35], -v[108:109], v[14:15], v[72:73]
	v_mul_f64 v[14:15], v[14:15], v[36:37]
	v_add_f64 v[34:35], v[34:35], -v[102:103]
	v_mul_f64 v[14:15], v[14:15], v[74:75]
	v_fma_f64 v[14:15], v[34:35], v[84:85], -v[14:15]
	v_mul_f64 v[34:35], v[78:79], v[78:79]
	v_fma_f64 v[46:47], s[24:25], v[34:35], v[44:45]
	v_fma_f64 v[46:47], v[34:35], v[46:47], s[26:27]
	;; [unrolled: 1-line block ×3, first 2 shown]
	s_mov_b32 s2, 0x9037ab78
	v_mul_f64 v[36:37], v[78:79], -v[34:35]
	v_fma_f64 v[46:47], v[34:35], v[46:47], s[30:31]
	v_mul_f64 v[50:51], v[10:11], 0.5
	s_mov_b32 s3, 0x3e21eeb6
	v_fmac_f64_e32 v[50:51], v[36:37], v[46:47]
	v_pk_mov_b32 v[88:89], s[2:3], s[2:3] op_sel:[0,1]
	v_fma_f64 v[46:47], v[34:35], v[50:51], -v[10:11]
	v_fma_f64 v[92:93], s[8:9], v[34:35], v[88:89]
	v_fmac_f64_e32 v[46:47], s[20:21], v[36:37]
	v_fma_f64 v[92:93], v[34:35], v[92:93], s[10:11]
	v_add_f64 v[36:37], v[78:79], -v[46:47]
	v_mul_f64 v[46:47], v[34:35], 0.5
	v_fma_f64 v[92:93], v[34:35], v[92:93], s[14:15]
	v_add_f64 v[50:51], -v[46:47], 1.0
	v_fma_f64 v[92:93], v[34:35], v[92:93], s[16:17]
	v_mul_f64 v[74:75], v[34:35], v[34:35]
	v_fma_f64 v[34:35], v[34:35], v[92:93], s[18:19]
	v_add_f64 v[92:93], -v[50:51], 1.0
	v_add_f64 v[46:47], v[92:93], -v[46:47]
	v_fma_f64 v[10:11], v[78:79], -v[10:11], v[46:47]
	v_fmac_f64_e32 v[10:11], v[74:75], v[34:35]
	v_cmp_eq_u32_e32 vcc, 0, v9
	v_add_f64 v[10:11], v[50:51], v[10:11]
	v_cndmask_b32_e32 v9, v10, v36, vcc
	v_cndmask_b32_e32 v10, v11, v37, vcc
	v_lshlrev_b32_e32 v11, 30, v90
	v_xor_b32_e32 v11, v11, v19
	v_and_b32_e32 v11, 0x80000000, v11
	v_xor_b32_e32 v11, v10, v11
	v_cndmask_b32_e64 v10, 0, v9, s[0:1]
	v_cndmask_b32_e64 v11, v126, v11, s[0:1]
	v_mul_f64 v[18:19], v[10:11], v[10:11]
	v_cmp_gt_f64_e32 vcc, s[80:81], v[10:11]
	v_cndmask_b32_e32 v35, v19, v106, vcc
	v_cndmask_b32_e32 v34, v18, v110, vcc
	;; [unrolled: 1-line block ×4, first 2 shown]
	v_mul_f64 v[10:11], -v[10:11], v[32:33]
	v_mul_f64 v[32:33], v[34:35], v[34:35]
	v_div_scale_f64 v[46:47], s[0:1], v[32:33], v[32:33], v[26:27]
	v_rcp_f64_e32 v[50:51], v[46:47]
	v_mul_f64 v[14:15], v[98:99], -v[14:15]
	v_fma_f64 v[18:19], -2.0, v[56:57], v[60:61]
	v_fmac_f64_e32 v[30:31], s[94:95], v[14:15]
	v_fma_f64 v[74:75], -v[46:47], v[50:51], 1.0
	v_fmac_f64_e32 v[50:51], v[50:51], v[74:75]
	v_fma_f64 v[74:75], -v[46:47], v[50:51], 1.0
	v_fmac_f64_e32 v[50:51], v[50:51], v[74:75]
	v_div_scale_f64 v[74:75], vcc, v[26:27], v[32:33], v[26:27]
	v_mul_f64 v[78:79], v[74:75], v[50:51]
	v_fma_f64 v[46:47], -v[46:47], v[78:79], v[74:75]
	v_add_f64 v[36:37], v[6:7], v[18:19]
	s_nop 0
	v_div_fmas_f64 v[46:47], v[46:47], v[50:51], v[78:79]
	v_div_fixup_f64 v[32:33], v[46:47], v[32:33], v[26:27]
	v_add_f64 v[32:33], v[32:33], -v[6:7]
	v_mul_f64 v[18:19], v[36:37], -v[30:31]
	v_mul_f64 v[10:11], v[32:33], v[10:11]
	v_mul_f64 v[18:19], v[18:19], v[62:63]
	;; [unrolled: 1-line block ×6, first 2 shown]
	v_mul_f64 v[32:33], v[10:11], 0.5
	v_fma_f64 v[78:79], s[8:9], v[10:11], v[88:89]
	v_add_f64 v[46:47], -v[32:33], 1.0
	v_fma_f64 v[78:79], v[10:11], v[78:79], s[10:11]
	v_add_f64 v[74:75], -v[46:47], 1.0
	v_fma_f64 v[78:79], v[10:11], v[78:79], s[14:15]
	v_add_f64 v[32:33], v[74:75], -v[32:33]
	v_fma_f64 v[78:79], v[10:11], v[78:79], s[16:17]
	v_fma_f64 v[44:45], s[24:25], v[10:11], v[44:45]
	v_mul_f64 v[74:75], v[10:11], v[10:11]
	v_fma_f64 v[78:79], v[10:11], v[78:79], s[18:19]
	v_fma_f64 v[32:33], v[38:39], -v[42:43], v[32:33]
	v_fma_f64 v[44:45], v[10:11], v[44:45], s[26:27]
	v_fmac_f64_e32 v[32:33], v[74:75], v[78:79]
	v_fma_f64 v[44:45], v[10:11], v[44:45], s[28:29]
	v_add_f64 v[32:33], v[46:47], v[32:33]
	v_fma_f64 v[44:45], v[10:11], v[44:45], s[30:31]
	v_mul_f64 v[46:47], v[38:39], -v[10:11]
	v_mul_f64 v[74:75], v[42:43], 0.5
	v_fmac_f64_e32 v[74:75], v[46:47], v[44:45]
	v_fma_f64 v[10:11], v[10:11], v[74:75], -v[42:43]
	v_fmac_f64_e32 v[10:11], s[20:21], v[46:47]
	v_add_f64 v[10:11], v[38:39], -v[10:11]
	v_xor_b32_e32 v9, 0x80000000, v11
	v_and_b32_e32 v11, 1, v91
	v_cmp_eq_u32_e32 vcc, 0, v11
	v_lshlrev_b32_e32 v11, 30, v91
	v_cndmask_b32_e32 v9, v9, v33, vcc
	v_and_b32_e32 v11, 0x80000000, v11
	v_cmp_class_f64_e64 s[0:1], v[58:59], s36
	v_cndmask_b32_e32 v10, v10, v32, vcc
	v_xor_b32_e32 v9, v9, v11
	v_fmac_f64_e32 v[82:83], s[48:49], v[50:51]
	v_cndmask_b32_e64 v90, 0, v10, s[0:1]
	v_cndmask_b32_e64 v91, v126, v9, s[0:1]
	v_mul_f64 v[92:93], v[82:83], v[82:83]
	v_mul_f64 v[10:11], v[90:91], v[90:91]
	v_fma_f64 v[32:33], v[6:7], v[10:11], v[92:93]
	v_div_scale_f64 v[10:11], s[2:3], v[32:33], v[32:33], 1.0
	v_rcp_f64_e32 v[38:39], v[10:11]
	v_fmac_f64_e32 v[94:95], s[48:49], v[18:19]
	v_fmac_f64_e32 v[68:69], s[60:61], v[118:119]
	v_pk_mov_b32 v[2:3], v[108:109], v[108:109] op_sel:[0,1]
	v_fma_f64 v[42:43], -v[10:11], v[38:39], 1.0
	v_fmac_f64_e32 v[38:39], v[38:39], v[42:43]
	v_fma_f64 v[42:43], -v[10:11], v[38:39], 1.0
	v_fmac_f64_e32 v[38:39], v[38:39], v[42:43]
	v_div_scale_f64 v[42:43], vcc, 1.0, v[32:33], 1.0
	v_mul_f64 v[44:45], v[42:43], v[38:39]
	v_fma_f64 v[10:11], -v[10:11], v[44:45], v[42:43]
                                        ; implicit-def: $vgpr106
                                        ; implicit-def: $vgpr78_vgpr79
                                        ; implicit-def: $vgpr88_vgpr89
	s_nop 1
	v_div_fmas_f64 v[10:11], v[10:11], v[38:39], v[44:45]
	v_div_fixup_f64 v[74:75], v[10:11], v[32:33], 1.0
	v_mul_f64 v[10:11], v[74:75], -v[94:95]
	v_mul_f64 v[10:11], v[98:99], v[10:11]
	v_fmac_f64_e32 v[68:69], 0x3fafa000, v[10:11]
	v_cmp_nlt_f64_e64 s[6:7], |v[68:69]|, s[4:5]
	v_trig_preop_f64 v[44:45], |v[68:69]|, 0
	v_trig_preop_f64 v[42:43], |v[68:69]|, 1
	v_ldexp_f64 v[46:47], |v[68:69]|, s33
	v_trig_preop_f64 v[38:39], |v[68:69]|, 2
	v_and_b32_e32 v58, 0x7fffffff, v69
	s_mov_b64 s[2:3], exec
	s_and_b64 vcc, s[2:3], s[6:7]
	s_xor_b64 s[22:23], vcc, s[2:3]
	v_pk_mov_b32 v[40:41], v[48:49], v[48:49] op_sel:[0,1]
	s_mov_b64 exec, vcc
	s_cbranch_execz .LBB0_124
; %bb.123:                              ;   in Loop: Header=BB0_90 Depth=2
	v_cmp_ge_f64_e64 vcc, |v[68:69]|, s[64:65]
	v_cndmask_b32_e32 v79, v58, v47, vcc
	v_cndmask_b32_e32 v78, v68, v46, vcc
	v_mul_f64 v[94:95], v[44:45], v[78:79]
	v_mul_f64 v[88:89], v[42:43], v[78:79]
	v_fma_f64 v[102:103], v[44:45], v[78:79], -v[94:95]
	v_add_f64 v[106:107], v[88:89], v[102:103]
	v_add_f64 v[108:109], v[94:95], v[106:107]
	v_ldexp_f64 v[110:111], v[108:109], -2
	v_fract_f64_e32 v[112:113], v[110:111]
	v_cmp_neq_f64_e64 vcc, |v[110:111]|, s[34:35]
	v_cndmask_b32_e32 v111, 0, v113, vcc
	v_cndmask_b32_e32 v110, 0, v112, vcc
	v_add_f64 v[112:113], v[106:107], -v[88:89]
	v_add_f64 v[102:103], v[102:103], -v[112:113]
	;; [unrolled: 1-line block ×4, first 2 shown]
	v_add_f64 v[102:103], v[102:103], v[112:113]
	v_fma_f64 v[88:89], v[42:43], v[78:79], -v[88:89]
	v_mul_f64 v[112:113], v[38:39], v[78:79]
	v_add_f64 v[114:115], v[112:113], v[88:89]
	v_add_f64 v[94:95], v[108:109], -v[94:95]
	v_add_f64 v[28:29], v[114:115], v[102:103]
	v_add_f64 v[94:95], v[106:107], -v[94:95]
	;; [unrolled: 2-line block ×3, first 2 shown]
	v_add_f64 v[108:109], v[28:29], -v[114:115]
	v_add_f64 v[94:95], v[28:29], -v[94:95]
	v_add_f64 v[28:29], v[28:29], -v[108:109]
	v_add_f64 v[102:103], v[102:103], -v[108:109]
	v_add_f64 v[28:29], v[114:115], -v[28:29]
	v_add_f64 v[28:29], v[102:103], v[28:29]
	v_add_f64 v[102:103], v[114:115], -v[112:113]
	v_add_f64 v[88:89], v[88:89], -v[102:103]
	;; [unrolled: 1-line block ×4, first 2 shown]
	v_add_f64 v[88:89], v[88:89], v[102:103]
	v_add_f64 v[28:29], v[88:89], v[28:29]
	v_fma_f64 v[78:79], v[38:39], v[78:79], -v[112:113]
	v_add_f64 v[28:29], v[78:79], v[28:29]
	v_ldexp_f64 v[78:79], v[110:111], 2
	v_add_f64 v[88:89], v[106:107], v[78:79]
	v_cmp_gt_f64_e32 vcc, 0, v[88:89]
	v_mov_b32_e32 v0, 0x40100000
	v_cndmask_b32_e32 v9, 0, v0, vcc
	v_add_f64 v[78:79], v[78:79], v[8:9]
	v_add_f64 v[88:89], v[106:107], v[78:79]
	v_cvt_i32_f64_e32 v9, v[88:89]
	v_cvt_f64_i32_e32 v[88:89], v9
	v_add_f64 v[78:79], v[78:79], -v[88:89]
	v_add_f64 v[88:89], v[106:107], v[78:79]
	v_add_f64 v[78:79], v[88:89], -v[78:79]
	v_cmp_le_f64_e32 vcc, 0.5, v[88:89]
	v_add_f64 v[28:29], v[94:95], v[28:29]
	v_add_f64 v[78:79], v[106:107], -v[78:79]
	v_addc_co_u32_e64 v106, s[2:3], 0, v9, vcc
	v_cndmask_b32_e32 v9, 0, v104, vcc
	v_add_f64 v[28:29], v[28:29], v[78:79]
	v_add_f64 v[78:79], v[88:89], -v[8:9]
	v_add_f64 v[88:89], v[78:79], v[28:29]
	s_mov_b32 s66, s68
	v_mul_f64 v[94:95], v[88:89], s[66:67]
	v_add_f64 v[78:79], v[88:89], -v[78:79]
	v_fma_f64 v[102:103], v[88:89], s[66:67], -v[94:95]
	s_mov_b32 s73, s71
	v_add_f64 v[28:29], v[28:29], -v[78:79]
	v_fmac_f64_e32 v[102:103], s[72:73], v[88:89]
	v_fmac_f64_e32 v[102:103], s[66:67], v[28:29]
	v_add_f64 v[78:79], v[94:95], v[102:103]
	v_add_f64 v[28:29], v[78:79], -v[94:95]
	v_add_f64 v[88:89], v[102:103], -v[28:29]
	s_andn2_saveexec_b64 s[2:3], s[22:23]
	s_cbranch_execz .LBB0_126
	s_branch .LBB0_125
.LBB0_124:                              ;   in Loop: Header=BB0_90 Depth=2
	s_andn2_saveexec_b64 s[2:3], s[22:23]
	s_cbranch_execz .LBB0_126
.LBB0_125:                              ;   in Loop: Header=BB0_90 Depth=2
	v_mul_f64 v[78:79], |v[68:69]|, s[74:75]
	v_rndne_f64_e32 v[94:95], v[78:79]
	v_fma_f64 v[78:79], v[94:95], s[68:69], |v[68:69]|
	v_mul_f64 v[102:103], v[94:95], s[76:77]
	v_add_f64 v[108:109], v[78:79], v[102:103]
	v_fma_f64 v[88:89], s[76:77], v[94:95], v[78:79]
	s_mov_b32 s70, s76
	v_add_f64 v[78:79], v[78:79], -v[108:109]
	v_fma_f64 v[106:107], s[70:71], v[94:95], v[102:103]
	v_add_f64 v[78:79], v[78:79], v[102:103]
	v_add_f64 v[102:103], v[108:109], -v[88:89]
	v_add_f64 v[78:79], v[102:103], v[78:79]
	v_add_f64 v[102:103], v[78:79], -v[106:107]
	v_fmac_f64_e32 v[102:103], s[78:79], v[94:95]
	v_add_f64 v[78:79], v[88:89], v[102:103]
	v_add_f64 v[88:89], v[78:79], -v[88:89]
	v_add_f64 v[88:89], v[102:103], -v[88:89]
	v_cvt_i32_f64_e32 v106, v[94:95]
.LBB0_126:                              ;   in Loop: Header=BB0_90 Depth=2
	s_or_b64 exec, exec, s[2:3]
                                        ; implicit-def: $vgpr107
                                        ; implicit-def: $vgpr94_vgpr95
                                        ; implicit-def: $vgpr102_vgpr103
	s_and_saveexec_b64 s[2:3], s[6:7]
	s_xor_b64 s[6:7], exec, s[2:3]
	s_cbranch_execz .LBB0_128
; %bb.127:                              ;   in Loop: Header=BB0_90 Depth=2
	v_cmp_ge_f64_e64 vcc, |v[68:69]|, s[64:65]
	v_cndmask_b32_e32 v29, v58, v47, vcc
	v_cndmask_b32_e32 v28, v68, v46, vcc
	v_mul_f64 v[94:95], v[44:45], v[28:29]
	v_mul_f64 v[46:47], v[42:43], v[28:29]
	v_fma_f64 v[44:45], v[44:45], v[28:29], -v[94:95]
	v_add_f64 v[102:103], v[46:47], v[44:45]
	v_add_f64 v[108:109], v[94:95], v[102:103]
	v_ldexp_f64 v[110:111], v[108:109], -2
	v_fract_f64_e32 v[112:113], v[110:111]
	v_cmp_neq_f64_e64 vcc, |v[110:111]|, s[34:35]
	v_cndmask_b32_e32 v111, 0, v113, vcc
	v_cndmask_b32_e32 v110, 0, v112, vcc
	v_add_f64 v[112:113], v[102:103], -v[46:47]
	v_add_f64 v[44:45], v[44:45], -v[112:113]
	;; [unrolled: 1-line block ×4, first 2 shown]
	v_fma_f64 v[42:43], v[42:43], v[28:29], -v[46:47]
	v_mul_f64 v[46:47], v[38:39], v[28:29]
	v_add_f64 v[44:45], v[44:45], v[112:113]
	v_add_f64 v[112:113], v[46:47], v[42:43]
	;; [unrolled: 1-line block ×3, first 2 shown]
	v_add_f64 v[94:95], v[108:109], -v[94:95]
	v_add_f64 v[108:109], v[114:115], -v[112:113]
	;; [unrolled: 1-line block ×5, first 2 shown]
	v_add_f64 v[44:45], v[44:45], v[108:109]
	v_add_f64 v[108:109], v[112:113], -v[46:47]
	v_add_f64 v[42:43], v[42:43], -v[108:109]
	;; [unrolled: 1-line block ×5, first 2 shown]
	v_add_f64 v[42:43], v[42:43], v[108:109]
	v_add_f64 v[102:103], v[94:95], v[114:115]
	;; [unrolled: 1-line block ×3, first 2 shown]
	v_fma_f64 v[28:29], v[38:39], v[28:29], -v[46:47]
	v_ldexp_f64 v[38:39], v[110:111], 2
	v_add_f64 v[28:29], v[28:29], v[42:43]
	v_add_f64 v[42:43], v[102:103], v[38:39]
	v_cmp_gt_f64_e32 vcc, 0, v[42:43]
	v_mov_b32_e32 v0, 0x40100000
	v_cndmask_b32_e32 v9, 0, v0, vcc
	v_add_f64 v[38:39], v[38:39], v[8:9]
	v_add_f64 v[42:43], v[102:103], v[38:39]
	v_cvt_i32_f64_e32 v9, v[42:43]
	v_cvt_f64_i32_e32 v[42:43], v9
	v_add_f64 v[38:39], v[38:39], -v[42:43]
	v_add_f64 v[94:95], v[102:103], -v[94:95]
	v_add_f64 v[42:43], v[102:103], v[38:39]
	v_add_f64 v[94:95], v[114:115], -v[94:95]
	v_add_f64 v[38:39], v[42:43], -v[38:39]
	v_cmp_le_f64_e32 vcc, 0.5, v[42:43]
	v_add_f64 v[28:29], v[94:95], v[28:29]
	v_add_f64 v[38:39], v[102:103], -v[38:39]
	v_addc_co_u32_e64 v107, s[2:3], 0, v9, vcc
	v_cndmask_b32_e32 v9, 0, v104, vcc
	v_add_f64 v[28:29], v[28:29], v[38:39]
	v_add_f64 v[38:39], v[42:43], -v[8:9]
	v_add_f64 v[42:43], v[38:39], v[28:29]
	v_add_f64 v[38:39], v[42:43], -v[38:39]
	s_mov_b32 s66, s68
	v_add_f64 v[28:29], v[28:29], -v[38:39]
	v_mul_f64 v[38:39], v[42:43], s[66:67]
	v_fma_f64 v[44:45], v[42:43], s[66:67], -v[38:39]
	s_mov_b32 s73, s71
	v_fmac_f64_e32 v[44:45], s[72:73], v[42:43]
	v_fmac_f64_e32 v[44:45], s[66:67], v[28:29]
	v_add_f64 v[94:95], v[38:39], v[44:45]
	v_add_f64 v[28:29], v[94:95], -v[38:39]
	v_add_f64 v[102:103], v[44:45], -v[28:29]
	s_or_saveexec_b64 s[2:3], s[6:7]
	v_add_f64 v[42:43], v[56:57], v[56:57]
	s_xor_b64 exec, exec, s[2:3]
	s_cbranch_execnz .LBB0_129
	s_branch .LBB0_130
.LBB0_128:                              ;   in Loop: Header=BB0_90 Depth=2
	s_or_saveexec_b64 s[2:3], s[6:7]
	v_add_f64 v[42:43], v[56:57], v[56:57]
	s_xor_b64 exec, exec, s[2:3]
	s_cbranch_execz .LBB0_130
.LBB0_129:                              ;   in Loop: Header=BB0_90 Depth=2
	v_mul_f64 v[28:29], |v[68:69]|, s[74:75]
	v_rndne_f64_e32 v[28:29], v[28:29]
	v_fma_f64 v[38:39], v[28:29], s[68:69], |v[68:69]|
	v_mul_f64 v[46:47], v[28:29], s[76:77]
	v_add_f64 v[102:103], v[38:39], v[46:47]
	v_fma_f64 v[44:45], s[76:77], v[28:29], v[38:39]
	s_mov_b32 s70, s76
	v_add_f64 v[38:39], v[38:39], -v[102:103]
	v_fma_f64 v[94:95], s[70:71], v[28:29], v[46:47]
	v_add_f64 v[38:39], v[38:39], v[46:47]
	v_add_f64 v[46:47], v[102:103], -v[44:45]
	v_add_f64 v[38:39], v[46:47], v[38:39]
	v_add_f64 v[38:39], v[38:39], -v[94:95]
	v_fmac_f64_e32 v[38:39], s[78:79], v[28:29]
	v_add_f64 v[94:95], v[44:45], v[38:39]
	v_add_f64 v[44:45], v[94:95], -v[44:45]
	v_add_f64 v[102:103], v[38:39], -v[44:45]
	v_cvt_i32_f64_e32 v107, v[28:29]
.LBB0_130:                              ;   in Loop: Header=BB0_90 Depth=2
	s_or_b64 exec, exec, s[2:3]
	buffer_load_dword v0, off, s[96:99], 0 offset:16 ; 4-byte Folded Reload
	buffer_load_dword v1, off, s[96:99], 0 offset:20 ; 4-byte Folded Reload
	v_add_f64 v[28:29], v[54:55], -v[76:77]
	v_mul_f64 v[36:37], v[36:37], v[66:67]
	v_and_b32_e32 v9, 1, v105
	v_add_f64 v[56:57], v[56:57], -1.0
	s_mov_b32 s48, s50
	s_mov_b32 s52, s54
	s_waitcnt vmcnt(0)
	v_mul_f64 v[28:29], v[0:1], v[28:29]
	v_div_scale_f64 v[38:39], s[2:3], v[64:65], v[64:65], v[28:29]
	v_rcp_f64_e32 v[44:45], v[38:39]
	v_fma_f64 v[46:47], -v[38:39], v[44:45], 1.0
	v_fmac_f64_e32 v[44:45], v[44:45], v[46:47]
	v_fma_f64 v[46:47], -v[38:39], v[44:45], 1.0
	v_fmac_f64_e32 v[44:45], v[44:45], v[46:47]
	v_div_scale_f64 v[46:47], vcc, v[28:29], v[64:65], v[28:29]
	v_mul_f64 v[54:55], v[46:47], v[44:45]
	v_fma_f64 v[38:39], -v[38:39], v[54:55], v[46:47]
	s_nop 1
	v_div_fmas_f64 v[38:39], v[38:39], v[44:45], v[54:55]
	v_div_fixup_f64 v[54:55], v[38:39], v[64:65], v[28:29]
	v_div_scale_f64 v[28:29], s[2:3], v[36:37], v[36:37], 1.0
	v_rcp_f64_e32 v[38:39], v[28:29]
	v_fmac_f64_e32 v[54:55], s[12:13], v[76:77]
	v_fma_f64 v[44:45], -v[28:29], v[38:39], 1.0
	v_fmac_f64_e32 v[38:39], v[38:39], v[44:45]
	v_fma_f64 v[44:45], -v[28:29], v[38:39], 1.0
	v_fmac_f64_e32 v[38:39], v[38:39], v[44:45]
	v_div_scale_f64 v[44:45], vcc, 1.0, v[36:37], 1.0
	v_mul_f64 v[46:47], v[44:45], v[38:39]
	v_fma_f64 v[28:29], -v[28:29], v[46:47], v[44:45]
	s_nop 1
	v_div_fmas_f64 v[64:65], v[28:29], v[38:39], v[46:47]
	v_add_f64 v[28:29], v[66:67], -v[42:43]
	v_mul_f64 v[28:29], v[0:1], v[28:29]
	v_div_scale_f64 v[38:39], s[2:3], v[34:35], v[34:35], v[28:29]
	v_rcp_f64_e32 v[44:45], v[38:39]
	s_mov_b32 s2, 0xb42fdfa7
	s_mov_b32 s3, 0xbe5ae600
	v_div_fixup_f64 v[36:37], v[64:65], v[36:37], 1.0
	v_fma_f64 v[46:47], -v[38:39], v[44:45], 1.0
	v_fmac_f64_e32 v[44:45], v[44:45], v[46:47]
	v_fma_f64 v[46:47], -v[38:39], v[44:45], 1.0
	v_fmac_f64_e32 v[44:45], v[44:45], v[46:47]
	v_div_scale_f64 v[46:47], vcc, v[28:29], v[34:35], v[28:29]
	v_mul_f64 v[66:67], v[46:47], v[44:45]
	v_fma_f64 v[38:39], -v[38:39], v[66:67], v[46:47]
	s_nop 1
	v_div_fmas_f64 v[38:39], v[38:39], v[44:45], v[66:67]
	v_div_fixup_f64 v[34:35], v[38:39], v[34:35], v[28:29]
	v_mul_f64 v[28:29], v[70:71], v[70:71]
	v_pk_mov_b32 v[38:39], s[2:3], s[2:3] op_sel:[0,1]
	v_fma_f64 v[44:45], s[24:25], v[28:29], v[38:39]
	v_fma_f64 v[44:45], v[28:29], v[44:45], s[26:27]
	;; [unrolled: 1-line block ×4, first 2 shown]
	v_mul_f64 v[46:47], v[70:71], -v[28:29]
	v_mul_f64 v[66:67], v[80:81], 0.5
	v_fmac_f64_e32 v[66:67], v[46:47], v[44:45]
	v_mul_f64 v[44:45], v[28:29], 0.5
	v_add_f64 v[108:109], -v[44:45], 1.0
	v_add_f64 v[110:111], -v[108:109], 1.0
	s_mov_b32 s2, 0x9037ab78
	v_add_f64 v[44:45], v[110:111], -v[44:45]
	s_mov_b32 s3, 0x3e21eeb6
	v_fma_f64 v[66:67], v[28:29], v[66:67], -v[80:81]
	v_fma_f64 v[110:111], v[70:71], -v[80:81], v[44:45]
	v_pk_mov_b32 v[80:81], s[2:3], s[2:3] op_sel:[0,1]
	v_fma_f64 v[44:45], s[8:9], v[28:29], v[80:81]
	v_fma_f64 v[44:45], v[28:29], v[44:45], s[10:11]
	;; [unrolled: 1-line block ×5, first 2 shown]
	v_mul_f64 v[28:29], v[28:29], v[28:29]
	v_fmac_f64_e32 v[110:111], v[28:29], v[44:45]
	v_fma_f64 v[28:29], -2.0, v[82:83], v[92:93]
	v_add_f64 v[44:45], v[6:7], v[28:29]
	v_mul_f64 v[28:29], v[44:45], v[32:33]
	v_div_scale_f64 v[112:113], s[2:3], v[28:29], v[28:29], 1.0
	v_rcp_f64_e32 v[114:115], v[112:113]
	v_fmac_f64_e32 v[66:67], s[20:21], v[46:47]
	v_add_f64 v[46:47], v[70:71], -v[66:67]
	v_fmac_f64_e32 v[32:33], -2.0, v[82:83]
	v_fma_f64 v[16:17], -v[112:113], v[114:115], 1.0
	v_fmac_f64_e32 v[114:115], v[114:115], v[16:17]
	v_fma_f64 v[16:17], -v[112:113], v[114:115], 1.0
	v_fmac_f64_e32 v[114:115], v[114:115], v[16:17]
	v_div_scale_f64 v[16:17], vcc, 1.0, v[28:29], 1.0
	v_mul_f64 v[48:49], v[16:17], v[114:115]
	v_fma_f64 v[16:17], -v[112:113], v[48:49], v[16:17]
	v_mul_f64 v[32:33], v[0:1], v[32:33]
	s_nop 0
	v_div_fmas_f64 v[16:17], v[16:17], v[114:115], v[48:49]
	v_add_f64 v[48:49], v[108:109], v[110:111]
	v_cmp_eq_u32_e32 vcc, 0, v9
	v_cndmask_b32_e32 v9, v48, v46, vcc
	v_cndmask_b32_e32 v46, v49, v47, vcc
	v_lshlrev_b32_e32 v47, 30, v105
	v_xor_b32_e32 v47, v47, v59
	v_and_b32_e32 v47, 0x80000000, v47
	v_xor_b32_e32 v47, v46, v47
	v_cndmask_b32_e64 v46, 0, v9, s[0:1]
	v_cndmask_b32_e64 v47, v126, v47, s[0:1]
	v_mul_f64 v[48:49], v[46:47], v[46:47]
	v_cmp_gt_f64_e64 s[0:1], s[80:81], v[46:47]
	v_mov_b32_e32 v9, 0x3c9cd2b2
	v_mov_b32_e32 v110, 0x97d889bc
	v_cndmask_b32_e64 v49, v49, v9, s[0:1]
	v_cndmask_b32_e64 v48, v48, v110, s[0:1]
	v_div_scale_f64 v[58:59], s[2:3], v[48:49], v[48:49], v[32:33]
	v_rcp_f64_e32 v[66:67], v[58:59]
	v_fmac_f64_e32 v[34:35], s[12:13], v[42:43]
	v_div_fixup_f64 v[16:17], v[16:17], v[28:29], 1.0
	v_pk_mov_b32 v[112:113], v[40:41], v[40:41] op_sel:[0,1]
	v_fma_f64 v[70:71], -v[58:59], v[66:67], 1.0
	v_fmac_f64_e32 v[66:67], v[66:67], v[70:71]
	v_fma_f64 v[70:71], -v[58:59], v[66:67], 1.0
	v_fmac_f64_e32 v[66:67], v[66:67], v[70:71]
	v_div_scale_f64 v[70:71], vcc, v[32:33], v[48:49], v[32:33]
	v_mul_f64 v[108:109], v[70:71], v[66:67]
	v_fma_f64 v[58:59], -v[58:59], v[108:109], v[70:71]
	v_mov_b32_e32 v40, 0x3e45798e
	s_nop 0
	v_div_fmas_f64 v[58:59], v[58:59], v[66:67], v[108:109]
	v_div_fixup_f64 v[32:33], v[58:59], v[48:49], v[32:33]
	v_mul_f64 v[48:49], v[48:49], v[48:49]
	v_div_scale_f64 v[58:59], s[2:3], v[48:49], v[48:49], v[26:27]
	v_rcp_f64_e32 v[66:67], v[58:59]
	v_mov_b32_e32 v41, 0xe2308c3a
	v_and_b32_e32 v9, 1, v106
	v_fma_f64 v[70:71], -v[58:59], v[66:67], 1.0
	v_fmac_f64_e32 v[66:67], v[66:67], v[70:71]
	v_fma_f64 v[70:71], -v[58:59], v[66:67], 1.0
	v_fmac_f64_e32 v[66:67], v[66:67], v[70:71]
	v_div_scale_f64 v[70:71], vcc, v[26:27], v[48:49], v[26:27]
	v_mul_f64 v[108:109], v[70:71], v[66:67]
	v_fma_f64 v[58:59], -v[58:59], v[108:109], v[70:71]
	v_mul_f64 v[70:71], v[84:85], -v[54:55]
	s_nop 0
	v_div_fmas_f64 v[66:67], v[58:59], v[66:67], v[108:109]
	v_pk_mov_b32 v[108:109], v[2:3], v[2:3] op_sel:[0,1]
	buffer_load_dword v2, off, s[96:99], 0 offset:32 ; 4-byte Folded Reload
	buffer_load_dword v3, off, s[96:99], 0 offset:36 ; 4-byte Folded Reload
	v_add_f64 v[54:55], v[30:31], v[30:31]
	v_mul_f64 v[30:31], v[30:31], v[54:55]
	v_add_f64 v[54:55], v[6:7], v[60:61]
	v_mul_f64 v[54:55], v[42:43], v[54:55]
	v_mul_f64 v[42:43], s[12:13], v[42:43]
	v_fma_f64 v[42:43], -v[0:1], v[42:43], v[54:55]
	v_fma_f64 v[54:55], -v[108:109], v[56:57], v[54:55]
	v_mul_f64 v[30:31], v[56:57], v[30:31]
	v_mul_f64 v[30:31], v[30:31], v[62:63]
	v_fma_f64 v[56:57], s[40:41], v[116:117], v[20:21]
	v_add_f64 v[54:55], v[54:55], -v[22:23]
	v_fmac_f64_e32 v[56:57], 0x40040000, v[52:53]
	v_fma_f64 v[30:31], v[54:55], v[36:37], -v[30:31]
	v_fmac_f64_e32 v[56:57], s[50:51], v[14:15]
	v_mul_f64 v[54:55], v[98:99], -v[30:31]
	v_fmac_f64_e32 v[56:57], s[48:49], v[54:55]
	v_mul_f64 v[62:63], v[36:37], -v[34:35]
	v_fma_f64 v[42:43], v[42:43], v[36:37], 1.0
	v_mul_f64 v[28:29], v[44:45], -v[56:57]
	v_add_f64 v[30:31], v[56:57], v[56:57]
	v_add_f64 v[36:37], v[82:83], v[82:83]
	;; [unrolled: 1-line block ×3, first 2 shown]
	v_mul_f64 v[30:31], v[56:57], v[30:31]
	v_fmac_f64_e32 v[32:33], s[12:13], v[36:37]
	v_mul_f64 v[44:45], v[36:37], v[44:45]
	v_mul_f64 v[36:37], s[12:13], v[36:37]
	v_add_f64 v[56:57], v[82:83], -1.0
	v_fma_f64 v[36:37], -v[0:1], v[36:37], v[44:45]
	v_fma_f64 v[44:45], -v[108:109], v[56:57], v[44:45]
	v_mul_f64 v[30:31], v[56:57], v[30:31]
	v_mul_f64 v[60:61], v[96:97], s[44:45]
	;; [unrolled: 1-line block ×3, first 2 shown]
	v_add_f64 v[44:45], v[44:45], -v[22:23]
	v_mul_f64 v[30:31], v[30:31], v[74:75]
	v_mul_f64 v[58:59], s[12:13], v[76:77]
	v_fma_f64 v[30:31], v[44:45], v[16:17], -v[30:31]
	v_fma_f64 v[82:83], v[124:125], s[42:43], -v[60:61]
	;; [unrolled: 1-line block ×3, first 2 shown]
	v_mul_f64 v[60:61], v[98:99], v[70:71]
	v_fma_f64 v[58:59], -v[0:1], v[58:59], v[72:73]
	v_mul_f64 v[92:93], v[16:17], v[32:33]
	v_fmac_f64_e32 v[76:77], s[46:47], v[118:119]
	v_mul_f64 v[62:63], v[98:99], v[62:63]
	v_fma_f64 v[84:85], v[58:59], v[84:85], 1.0
	v_fma_f64 v[16:17], v[36:37], v[16:17], 1.0
	v_cndmask_b32_e64 v33, v47, v40, s[0:1]
	v_cndmask_b32_e64 v32, v46, v41, s[0:1]
	v_div_fixup_f64 v[46:47], v[66:67], v[48:49], v[26:27]
	v_fmac_f64_e32 v[76:77], s[54:55], v[10:11]
	v_mul_f64 v[10:11], v[98:99], v[92:93]
	v_mul_f64 v[32:33], -v[32:33], v[90:91]
	v_add_f64 v[46:47], v[46:47], -v[6:7]
	v_mul_f64 v[64:65], v[98:99], -v[84:85]
	v_mul_f64 v[46:47], v[46:47], v[32:33]
	v_mul_f64 v[32:33], v[100:101], s[44:45]
	v_mul_f64 v[66:67], v[98:99], -v[42:43]
	v_fma_f64 v[32:33], v[122:123], s[42:43], -v[32:33]
	v_mul_f64 v[42:43], v[46:47], v[74:75]
	v_fmac_f64_e32 v[32:33], s[46:47], v[18:19]
	v_mul_f64 v[48:49], v[116:117], s[44:45]
	v_fma_f64 v[34:35], v[14:15], s[42:43], -v[48:49]
	v_fmac_f64_e32 v[34:35], s[46:47], v[54:55]
	v_mul_f64 v[28:29], v[28:29], v[74:75]
	v_fmac_f64_e32 v[82:83], s[46:47], v[50:51]
	v_mul_f64 v[28:29], v[98:99], v[28:29]
	v_fmac_f64_e32 v[82:83], s[54:55], v[28:29]
	v_cmp_eq_u32_e32 vcc, 0, v9
	s_waitcnt vmcnt(0)
	v_mul_f64 v[56:57], v[2:3], v[98:99]
	buffer_load_dword v2, off, s[96:99], 0 offset:40 ; 4-byte Folded Reload
	buffer_load_dword v3, off, s[96:99], 0 offset:44 ; 4-byte Folded Reload
	v_mul_f64 v[44:45], v[56:57], s[44:45]
	v_fma_f64 v[72:73], v[60:61], s[42:43], -v[44:45]
	v_fmac_f64_e32 v[72:73], s[46:47], v[62:63]
	v_fmac_f64_e32 v[72:73], s[52:53], v[10:11]
	v_mul_f64 v[10:11], v[98:99], v[16:17]
	v_mul_f64 v[16:17], v[98:99], -v[30:31]
	v_fma_f64 v[30:31], s[56:57], v[100:101], v[24:25]
	v_fmac_f64_e32 v[30:31], 0x3fd5e000, v[12:13]
	v_fmac_f64_e32 v[30:31], s[58:59], v[122:123]
	;; [unrolled: 1-line block ×4, first 2 shown]
	v_mul_f64 v[44:45], v[88:89], 0.5
	s_waitcnt vmcnt(0)
	v_mul_f64 v[58:59], v[98:99], -v[2:3]
	v_mul_f64 v[36:37], v[58:59], s[44:45]
	v_fma_f64 v[36:37], v[64:65], s[42:43], -v[36:37]
	v_fmac_f64_e32 v[36:37], s[46:47], v[66:67]
	v_fmac_f64_e32 v[36:37], s[52:53], v[10:11]
	v_mul_f64 v[10:11], v[98:99], v[42:43]
	v_fmac_f64_e32 v[32:33], s[54:55], v[10:11]
	v_fmac_f64_e32 v[30:31], 0x3fafa000, v[10:11]
	v_fma_f64 v[10:11], s[56:57], v[116:117], v[20:21]
	v_fmac_f64_e32 v[10:11], 0x3fd5e000, v[52:53]
	v_fmac_f64_e32 v[10:11], s[58:59], v[14:15]
	;; [unrolled: 1-line block ×3, first 2 shown]
	v_pk_mov_b32 v[2:3], v[4:5], v[4:5] op_sel:[0,1]
	v_fmac_f64_e32 v[10:11], 0x3fafa000, v[16:17]
	v_fma_f64 v[12:13], s[56:57], v[96:97], v[2:3]
	v_mul_f64 v[16:17], v[78:79], v[78:79]
	v_fmac_f64_e32 v[12:13], 0x3fd5e000, v[120:121]
	v_fma_f64 v[42:43], s[24:25], v[16:17], v[38:39]
	v_fmac_f64_e32 v[12:13], s[58:59], v[124:125]
	v_fma_f64 v[42:43], v[16:17], v[42:43], s[26:27]
	;; [unrolled: 2-line block ×3, first 2 shown]
	v_fmac_f64_e32 v[12:13], 0x3fafa000, v[28:29]
	v_mul_f64 v[28:29], v[78:79], -v[16:17]
	v_fma_f64 v[42:43], v[16:17], v[42:43], s[30:31]
	v_fmac_f64_e32 v[44:45], v[28:29], v[42:43]
	v_fma_f64 v[42:43], v[16:17], v[44:45], -v[88:89]
	v_fma_f64 v[48:49], s[8:9], v[16:17], v[80:81]
	v_fmac_f64_e32 v[42:43], s[20:21], v[28:29]
	v_fma_f64 v[48:49], v[16:17], v[48:49], s[10:11]
	v_add_f64 v[28:29], v[78:79], -v[42:43]
	v_mul_f64 v[42:43], v[16:17], 0.5
	v_fma_f64 v[48:49], v[16:17], v[48:49], s[14:15]
	v_add_f64 v[44:45], -v[42:43], 1.0
	v_fma_f64 v[48:49], v[16:17], v[48:49], s[16:17]
	v_mul_f64 v[46:47], v[16:17], v[16:17]
	v_fma_f64 v[16:17], v[16:17], v[48:49], s[18:19]
	v_add_f64 v[48:49], -v[44:45], 1.0
	v_add_f64 v[42:43], v[48:49], -v[42:43]
	v_fma_f64 v[42:43], v[78:79], -v[88:89], v[42:43]
	v_fmac_f64_e32 v[42:43], v[46:47], v[16:17]
	v_add_f64 v[16:17], v[44:45], v[42:43]
	v_cndmask_b32_e32 v9, v16, v28, vcc
	v_cndmask_b32_e32 v16, v17, v29, vcc
	v_lshlrev_b32_e32 v17, 30, v106
	v_xor_b32_e32 v17, v17, v69
	v_and_b32_e32 v17, 0x80000000, v17
	v_xor_b32_e32 v16, v16, v17
	v_cmp_class_f64_e64 vcc, v[68:69], s36
	v_cndmask_b32_e32 v43, v126, v16, vcc
	v_mul_f64 v[16:17], v[94:95], v[94:95]
	v_mul_f64 v[28:29], v[16:17], 0.5
	v_fma_f64 v[48:49], s[8:9], v[16:17], v[80:81]
	v_add_f64 v[44:45], -v[28:29], 1.0
	v_fma_f64 v[48:49], v[16:17], v[48:49], s[10:11]
	v_add_f64 v[46:47], -v[44:45], 1.0
	v_fma_f64 v[48:49], v[16:17], v[48:49], s[14:15]
	v_add_f64 v[28:29], v[46:47], -v[28:29]
	v_fma_f64 v[48:49], v[16:17], v[48:49], s[16:17]
	v_fma_f64 v[38:39], s[24:25], v[16:17], v[38:39]
	v_mul_f64 v[46:47], v[16:17], v[16:17]
	v_fma_f64 v[48:49], v[16:17], v[48:49], s[18:19]
	v_fma_f64 v[28:29], v[94:95], -v[102:103], v[28:29]
	v_fma_f64 v[38:39], v[16:17], v[38:39], s[26:27]
	v_fmac_f64_e32 v[28:29], v[46:47], v[48:49]
	v_fma_f64 v[38:39], v[16:17], v[38:39], s[28:29]
	v_add_f64 v[28:29], v[44:45], v[28:29]
	v_fma_f64 v[38:39], v[16:17], v[38:39], s[30:31]
	v_mul_f64 v[44:45], v[94:95], -v[16:17]
	v_mul_f64 v[46:47], v[102:103], 0.5
	v_fmac_f64_e32 v[46:47], v[44:45], v[38:39]
	v_fma_f64 v[16:17], v[16:17], v[46:47], -v[102:103]
	v_fmac_f64_e32 v[16:17], s[20:21], v[44:45]
	v_add_f64 v[16:17], v[94:95], -v[16:17]
	v_cndmask_b32_e32 v42, 0, v9, vcc
	v_xor_b32_e32 v9, 0x80000000, v17
	v_and_b32_e32 v17, 1, v107
	v_cmp_eq_u32_e64 s[0:1], 0, v17
	v_lshlrev_b32_e32 v17, 30, v107
	v_cndmask_b32_e64 v9, v9, v29, s[0:1]
	v_and_b32_e32 v17, 0x80000000, v17
	v_cndmask_b32_e64 v16, v16, v28, s[0:1]
	v_xor_b32_e32 v9, v9, v17
	v_cndmask_b32_e32 v16, 0, v16, vcc
	v_cndmask_b32_e32 v17, v126, v9, vcc
	v_mul_f64 v[38:39], v[16:17], v[16:17]
	v_add_f64 v[44:45], v[12:13], v[12:13]
	v_mul_f64 v[38:39], v[6:7], v[38:39]
	v_fma_f64 v[46:47], v[12:13], v[12:13], -v[44:45]
	v_fmac_f64_e32 v[38:39], v[12:13], v[12:13]
	v_add_f64 v[46:47], v[6:7], v[46:47]
	v_mul_f64 v[48:49], v[46:47], v[38:39]
	v_div_scale_f64 v[52:53], s[0:1], v[48:49], v[48:49], 1.0
	v_rcp_f64_e32 v[68:69], v[52:53]
	v_mov_b32_e32 v106, 0x3c9cd2b2
	v_mul_f64 v[28:29], v[42:43], v[42:43]
	v_cmp_gt_f64_e64 s[0:1], s[80:81], v[42:43]
	v_fma_f64 v[70:71], -v[52:53], v[68:69], 1.0
	v_fmac_f64_e32 v[68:69], v[68:69], v[70:71]
	v_fma_f64 v[70:71], -v[52:53], v[68:69], 1.0
	v_fmac_f64_e32 v[68:69], v[68:69], v[70:71]
	v_div_scale_f64 v[70:71], vcc, 1.0, v[48:49], 1.0
	v_mul_f64 v[74:75], v[70:71], v[68:69]
	v_fma_f64 v[52:53], -v[52:53], v[74:75], v[70:71]
	v_div_scale_f64 v[70:71], s[2:3], v[38:39], v[38:39], 1.0
	v_rcp_f64_e32 v[78:79], v[70:71]
	v_div_fmas_f64 v[52:53], v[52:53], v[68:69], v[74:75]
	v_div_fixup_f64 v[48:49], v[52:53], v[48:49], 1.0
	v_cndmask_b32_e64 v29, v29, v106, s[0:1]
	v_fma_f64 v[52:53], -v[70:71], v[78:79], 1.0
	v_fmac_f64_e32 v[78:79], v[78:79], v[52:53]
	v_fma_f64 v[52:53], -v[70:71], v[78:79], 1.0
	v_fmac_f64_e32 v[78:79], v[78:79], v[52:53]
	v_div_scale_f64 v[52:53], vcc, 1.0, v[38:39], 1.0
	v_mul_f64 v[68:69], v[52:53], v[78:79]
	v_fma_f64 v[52:53], -v[70:71], v[68:69], v[52:53]
	v_cndmask_b32_e64 v28, v28, v110, s[0:1]
	s_nop 0
	v_div_fmas_f64 v[52:53], v[52:53], v[78:79], v[68:69]
	v_div_fixup_f64 v[52:53], v[52:53], v[38:39], 1.0
	v_fmac_f64_e32 v[38:39], -2.0, v[12:13]
	v_mul_f64 v[38:39], v[0:1], v[38:39]
	v_div_scale_f64 v[68:69], s[2:3], v[28:29], v[28:29], v[38:39]
	v_rcp_f64_e32 v[70:71], v[68:69]
	v_mul_f64 v[74:75], s[12:13], v[44:45]
	v_mul_f64 v[46:47], v[46:47], -v[10:11]
	v_pk_mov_b32 v[102:103], v[22:23], v[22:23] op_sel:[0,1]
	v_fma_f64 v[78:79], -v[68:69], v[70:71], 1.0
	v_fmac_f64_e32 v[70:71], v[70:71], v[78:79]
	v_fma_f64 v[78:79], -v[68:69], v[70:71], 1.0
	v_fmac_f64_e32 v[70:71], v[70:71], v[78:79]
	v_div_scale_f64 v[78:79], vcc, v[38:39], v[28:29], v[38:39]
	v_mul_f64 v[80:81], v[78:79], v[70:71]
	v_fma_f64 v[68:69], -v[68:69], v[80:81], v[78:79]
	v_cndmask_b32_e64 v43, v43, v40, s[0:1]
	s_nop 0
	v_div_fmas_f64 v[68:69], v[68:69], v[70:71], v[80:81]
	v_div_fixup_f64 v[38:39], v[68:69], v[28:29], v[38:39]
	v_fma_f64 v[68:69], v[12:13], v[12:13], v[6:7]
	v_fmac_f64_e32 v[38:39], s[12:13], v[44:45]
	v_mul_f64 v[44:45], v[44:45], v[68:69]
	v_fma_f64 v[68:69], -v[0:1], v[74:75], v[44:45]
	buffer_load_dword v0, off, s[96:99], 0 offset:64 ; 4-byte Folded Reload
	buffer_load_dword v1, off, s[96:99], 0 offset:68 ; 4-byte Folded Reload
	v_fma_f64 v[74:75], v[68:69], v[48:49], 1.0
	v_add_f64 v[68:69], v[10:11], v[10:11]
	v_add_f64 v[12:13], v[12:13], -1.0
	v_mul_f64 v[10:11], v[10:11], v[68:69]
	v_fma_f64 v[44:45], -v[108:109], v[12:13], v[44:45]
	v_mul_f64 v[10:11], v[12:13], v[10:11]
	v_add_f64 v[44:45], v[44:45], -v[102:103]
	v_mul_f64 v[10:11], v[10:11], v[52:53]
	v_fma_f64 v[44:45], v[44:45], v[48:49], -v[10:11]
	v_mul_f64 v[10:11], v[28:29], v[28:29]
	v_div_scale_f64 v[12:13], s[2:3], v[10:11], v[10:11], v[26:27]
	v_rcp_f64_e32 v[28:29], v[12:13]
	v_cndmask_b32_e64 v42, v42, v41, s[0:1]
	v_mul_f64 v[16:17], -v[42:43], v[16:17]
	v_mul_f64 v[38:39], v[48:49], -v[38:39]
	v_fma_f64 v[42:43], -v[12:13], v[28:29], 1.0
	v_fmac_f64_e32 v[28:29], v[28:29], v[42:43]
	v_fma_f64 v[42:43], -v[12:13], v[28:29], 1.0
	v_fmac_f64_e32 v[28:29], v[28:29], v[42:43]
	v_div_scale_f64 v[42:43], vcc, v[26:27], v[10:11], v[26:27]
	v_mul_f64 v[48:49], v[42:43], v[28:29]
	v_fma_f64 v[12:13], -v[12:13], v[48:49], v[42:43]
	v_mul_f64 v[46:47], v[46:47], v[52:53]
	s_nop 0
	v_div_fmas_f64 v[12:13], v[12:13], v[28:29], v[48:49]
	v_div_fixup_f64 v[10:11], v[12:13], v[10:11], v[26:27]
	v_mul_f64 v[68:69], v[98:99], v[46:47]
	v_add_f64 v[10:11], v[10:11], -v[6:7]
	v_fmac_f64_e32 v[82:83], s[38:39], v[68:69]
	v_mul_f64 v[10:11], v[10:11], v[16:17]
	v_mul_f64 v[16:17], v[10:11], v[52:53]
	;; [unrolled: 1-line block ×3, first 2 shown]
	buffer_load_dword v4, off, s[96:99], 0 offset:72 ; 4-byte Folded Reload
	buffer_load_dword v5, off, s[96:99], 0 offset:76 ; 4-byte Folded Reload
	v_mul_f64 v[30:31], v[52:53], -v[30:31]
	v_mul_f64 v[52:53], v[98:99], v[16:17]
	v_mul_f64 v[70:71], v[98:99], v[30:31]
	v_fmac_f64_e32 v[76:77], s[38:39], v[70:71]
	v_mul_f64 v[30:31], v[98:99], -v[44:45]
	v_fmac_f64_e32 v[72:73], s[38:39], v[10:11]
	v_mul_f64 v[12:13], v[98:99], -v[74:75]
	v_fmac_f64_e32 v[36:37], s[38:39], v[12:13]
	v_fmac_f64_e32 v[34:35], s[38:39], v[30:31]
	;; [unrolled: 1-line block ×3, first 2 shown]
	s_mov_b64 s[2:3], -1
                                        ; implicit-def: $vgpr120_vgpr121
	s_waitcnt vmcnt(2)
	v_div_scale_f64 v[28:29], s[0:1], v[0:1], v[0:1], v[82:83]
	v_rcp_f64_e32 v[38:39], v[28:29]
	v_fma_f64 v[16:17], -v[28:29], v[38:39], 1.0
	v_fmac_f64_e32 v[38:39], v[38:39], v[16:17]
	v_fma_f64 v[16:17], -v[28:29], v[38:39], 1.0
	v_fmac_f64_e32 v[38:39], v[38:39], v[16:17]
	v_div_scale_f64 v[16:17], vcc, v[82:83], v[0:1], v[82:83]
	v_mul_f64 v[42:43], v[16:17], v[38:39]
	v_fma_f64 v[16:17], -v[28:29], v[42:43], v[16:17]
	s_waitcnt vmcnt(0)
	v_div_scale_f64 v[28:29], s[0:1], v[4:5], v[4:5], v[76:77]
	v_div_fmas_f64 v[16:17], v[16:17], v[38:39], v[42:43]
	v_div_fixup_f64 v[16:17], v[16:17], v[0:1], v[82:83]
	buffer_load_dword v0, off, s[96:99], 0 offset:80 ; 4-byte Folded Reload
	buffer_load_dword v1, off, s[96:99], 0 offset:84 ; 4-byte Folded Reload
	v_rcp_f64_e32 v[44:45], v[28:29]
	v_max_f64 v[16:17], |v[16:17]|, 0
	v_fma_f64 v[38:39], -v[28:29], v[44:45], 1.0
	v_fmac_f64_e32 v[44:45], v[44:45], v[38:39]
	v_fma_f64 v[38:39], -v[28:29], v[44:45], 1.0
	v_fmac_f64_e32 v[44:45], v[44:45], v[38:39]
	v_div_scale_f64 v[38:39], vcc, v[76:77], v[4:5], v[76:77]
	v_mul_f64 v[42:43], v[38:39], v[44:45]
	v_fma_f64 v[28:29], -v[28:29], v[42:43], v[38:39]
	s_waitcnt vmcnt(0)
	v_div_scale_f64 v[38:39], s[0:1], v[0:1], v[0:1], v[72:73]
	v_div_fmas_f64 v[28:29], v[28:29], v[44:45], v[42:43]
	v_rcp_f64_e32 v[42:43], v[38:39]
	v_div_fixup_f64 v[28:29], v[28:29], v[4:5], v[76:77]
	v_cmp_gt_f64_e64 vcc, |v[28:29]|, v[16:17]
	v_and_b32_e32 v9, 0x7fffffff, v29
	v_cndmask_b32_e32 v16, v16, v28, vcc
	v_fma_f64 v[28:29], -v[38:39], v[42:43], 1.0
	v_fmac_f64_e32 v[42:43], v[42:43], v[28:29]
	v_fma_f64 v[28:29], -v[38:39], v[42:43], 1.0
	v_cndmask_b32_e32 v17, v17, v9, vcc
	v_fmac_f64_e32 v[42:43], v[42:43], v[28:29]
	v_div_scale_f64 v[28:29], vcc, v[72:73], v[0:1], v[72:73]
	v_mul_f64 v[44:45], v[28:29], v[42:43]
	v_fma_f64 v[28:29], -v[38:39], v[44:45], v[28:29]
	s_nop 1
	v_div_fmas_f64 v[28:29], v[28:29], v[42:43], v[44:45]
	v_div_fixup_f64 v[28:29], v[28:29], v[0:1], v[72:73]
	buffer_load_dword v0, off, s[96:99], 0 offset:88 ; 4-byte Folded Reload
	buffer_load_dword v1, off, s[96:99], 0 offset:92 ; 4-byte Folded Reload
	v_cmp_gt_f64_e64 vcc, |v[28:29]|, v[16:17]
	v_and_b32_e32 v9, 0x7fffffff, v29
	v_cndmask_b32_e32 v16, v16, v28, vcc
	v_cndmask_b32_e32 v17, v17, v9, vcc
	s_waitcnt vmcnt(0)
	v_div_scale_f64 v[38:39], s[0:1], v[0:1], v[0:1], v[36:37]
	v_rcp_f64_e32 v[42:43], v[38:39]
	v_fma_f64 v[28:29], -v[38:39], v[42:43], 1.0
	v_fmac_f64_e32 v[42:43], v[42:43], v[28:29]
	v_fma_f64 v[28:29], -v[38:39], v[42:43], 1.0
	v_fmac_f64_e32 v[42:43], v[42:43], v[28:29]
	v_div_scale_f64 v[28:29], vcc, v[36:37], v[0:1], v[36:37]
	v_mul_f64 v[44:45], v[28:29], v[42:43]
	v_fma_f64 v[28:29], -v[38:39], v[44:45], v[28:29]
	s_nop 1
	v_div_fmas_f64 v[28:29], v[28:29], v[42:43], v[44:45]
	v_div_fixup_f64 v[28:29], v[28:29], v[0:1], v[36:37]
	buffer_load_dword v0, off, s[96:99], 0 offset:96 ; 4-byte Folded Reload
	buffer_load_dword v1, off, s[96:99], 0 offset:100 ; 4-byte Folded Reload
	v_cmp_gt_f64_e64 vcc, |v[28:29]|, v[16:17]
	v_and_b32_e32 v9, 0x7fffffff, v29
	v_cndmask_b32_e32 v16, v16, v28, vcc
	v_cndmask_b32_e32 v17, v17, v9, vcc
	s_waitcnt vmcnt(0)
	v_div_scale_f64 v[36:37], s[0:1], v[0:1], v[0:1], v[34:35]
	v_rcp_f64_e32 v[38:39], v[36:37]
	v_fma_f64 v[28:29], -v[36:37], v[38:39], 1.0
	v_fmac_f64_e32 v[38:39], v[38:39], v[28:29]
	v_fma_f64 v[28:29], -v[36:37], v[38:39], 1.0
	v_fmac_f64_e32 v[38:39], v[38:39], v[28:29]
	v_div_scale_f64 v[28:29], vcc, v[34:35], v[0:1], v[34:35]
	v_mul_f64 v[42:43], v[28:29], v[38:39]
	v_fma_f64 v[28:29], -v[36:37], v[42:43], v[28:29]
	s_nop 1
	v_div_fmas_f64 v[28:29], v[28:29], v[38:39], v[42:43]
	v_div_fixup_f64 v[28:29], v[28:29], v[0:1], v[34:35]
	buffer_load_dword v0, off, s[96:99], 0 offset:104 ; 4-byte Folded Reload
	buffer_load_dword v1, off, s[96:99], 0 offset:108 ; 4-byte Folded Reload
	v_cmp_gt_f64_e64 vcc, |v[28:29]|, v[16:17]
	v_and_b32_e32 v9, 0x7fffffff, v29
	v_cndmask_b32_e32 v16, v16, v28, vcc
	v_cndmask_b32_e32 v17, v17, v9, vcc
	s_waitcnt vmcnt(0)
	v_div_scale_f64 v[34:35], s[0:1], v[0:1], v[0:1], v[32:33]
	v_rcp_f64_e32 v[36:37], v[34:35]
	s_mov_b32 s0, 0x1e900000
	s_mov_b32 s1, 0x42d6bcc4
	v_fma_f64 v[28:29], -v[34:35], v[36:37], 1.0
	v_fmac_f64_e32 v[36:37], v[36:37], v[28:29]
	v_fma_f64 v[28:29], -v[34:35], v[36:37], 1.0
	v_fmac_f64_e32 v[36:37], v[36:37], v[28:29]
	v_div_scale_f64 v[28:29], vcc, v[32:33], v[0:1], v[32:33]
	v_mul_f64 v[38:39], v[28:29], v[36:37]
	v_fma_f64 v[28:29], -v[34:35], v[38:39], v[28:29]
	s_nop 1
	v_div_fmas_f64 v[28:29], v[28:29], v[36:37], v[38:39]
	v_div_fixup_f64 v[28:29], v[28:29], v[0:1], v[32:33]
	v_and_b32_e32 v9, 0x7fffffff, v29
	v_cmp_gt_f64_e64 vcc, |v[28:29]|, v[16:17]
	v_cndmask_b32_e32 v17, v17, v9, vcc
	v_cndmask_b32_e32 v16, v16, v28, vcc
	v_mul_f64 v[34:35], v[16:17], s[0:1]
	v_cmp_nge_f64_e32 vcc, 1.0, v[34:35]
	s_and_saveexec_b64 s[0:1], vcc
	s_cbranch_execz .LBB0_89
; %bb.131:                              ;   in Loop: Header=BB0_90 Depth=2
	v_readlane_b32 s2, v127, 12
	v_readlane_b32 s3, v127, 13
	s_mov_b32 s2, s88
	s_mov_b32 s7, s3
	v_mul_f64 v[16:17], v[98:99], s[2:3]
	s_mov_b32 s2, 0
	s_brev_b32 s3, 8
	v_cmp_gt_f64_e32 vcc, s[2:3], v[34:35]
	v_cndmask_b32_e64 v9, 0, 1, vcc
	v_lshlrev_b32_e32 v9, 8, v9
	v_ldexp_f64 v[28:29], v[34:35], v9
	v_rsq_f64_e32 v[32:33], v[28:29]
	v_mov_b32_e32 v44, 0xffffff80
	v_cndmask_b32_e32 v9, 0, v44, vcc
	v_mov_b32_e32 v45, 0x260
	v_mul_f64 v[36:37], v[28:29], v[32:33]
	v_mul_f64 v[32:33], v[32:33], 0.5
	v_fma_f64 v[38:39], -v[32:33], v[36:37], 0.5
	v_fmac_f64_e32 v[36:37], v[36:37], v[38:39]
	v_fma_f64 v[42:43], -v[36:37], v[36:37], v[28:29]
	v_fmac_f64_e32 v[32:33], v[32:33], v[38:39]
	v_fmac_f64_e32 v[36:37], v[42:43], v[32:33]
	v_fma_f64 v[38:39], -v[36:37], v[36:37], v[28:29]
	v_fmac_f64_e32 v[36:37], v[38:39], v[32:33]
	v_ldexp_f64 v[32:33], v[36:37], v9
	v_cmp_class_f64_e32 vcc, v[28:29], v45
	v_cndmask_b32_e32 v29, v33, v29, vcc
	v_cndmask_b32_e32 v28, v32, v28, vcc
	v_cmp_gt_f64_e32 vcc, s[2:3], v[28:29]
	v_cndmask_b32_e64 v9, 0, 1, vcc
	v_lshlrev_b32_e32 v9, 8, v9
	v_ldexp_f64 v[28:29], v[28:29], v9
	v_rsq_f64_e32 v[32:33], v[28:29]
	v_cndmask_b32_e32 v9, 0, v44, vcc
	v_cmp_class_f64_e32 vcc, v[28:29], v45
	v_writelane_b32 v127, s6, 12
	v_mul_f64 v[36:37], v[28:29], v[32:33]
	v_mul_f64 v[32:33], v[32:33], 0.5
	v_fma_f64 v[38:39], -v[32:33], v[36:37], 0.5
	v_fmac_f64_e32 v[36:37], v[36:37], v[38:39]
	v_fma_f64 v[42:43], -v[36:37], v[36:37], v[28:29]
	v_fmac_f64_e32 v[32:33], v[32:33], v[38:39]
	v_fmac_f64_e32 v[36:37], v[42:43], v[32:33]
	v_fma_f64 v[38:39], -v[36:37], v[36:37], v[28:29]
	v_fmac_f64_e32 v[36:37], v[38:39], v[32:33]
	v_ldexp_f64 v[32:33], v[36:37], v9
	v_cndmask_b32_e32 v29, v33, v29, vcc
	v_cndmask_b32_e32 v28, v32, v28, vcc
	v_div_scale_f64 v[32:33], s[2:3], v[28:29], v[28:29], v[16:17]
	v_rcp_f64_e32 v[36:37], v[32:33]
	v_writelane_b32 v127, s7, 13
	v_readlane_b32 s2, v127, 14
	v_readlane_b32 s3, v127, 15
	v_fma_f64 v[38:39], -v[32:33], v[36:37], 1.0
	v_fmac_f64_e32 v[36:37], v[36:37], v[38:39]
	v_fma_f64 v[38:39], -v[32:33], v[36:37], 1.0
	v_fmac_f64_e32 v[36:37], v[36:37], v[38:39]
	v_div_scale_f64 v[38:39], vcc, v[16:17], v[28:29], v[16:17]
	v_mul_f64 v[42:43], v[38:39], v[36:37]
	v_fma_f64 v[32:33], -v[32:33], v[42:43], v[38:39]
	s_mov_b32 s2, s84
	s_mov_b32 s7, s3
	v_div_fmas_f64 v[32:33], v[32:33], v[36:37], v[42:43]
	v_writelane_b32 v127, s6, 14
	v_mul_f64 v[120:121], v[98:99], s[2:3]
	v_div_fixup_f64 v[32:33], v[32:33], v[28:29], v[16:17]
	v_writelane_b32 v127, s7, 15
	v_cmp_le_f64_e32 vcc, 0, v[120:121]
	s_and_saveexec_b64 s[2:3], vcc
	s_xor_b64 s[2:3], exec, s[2:3]
	s_cbranch_execz .LBB0_135
; %bb.132:                              ;   in Loop: Header=BB0_90 Depth=2
	v_cmp_gt_f64_e32 vcc, v[32:33], v[120:121]
	s_and_saveexec_b64 s[6:7], vcc
	s_xor_b64 s[6:7], exec, s[6:7]
; %bb.133:                              ;   in Loop: Header=BB0_90 Depth=2
	v_pk_mov_b32 v[120:121], v[32:33], v[32:33] op_sel:[0,1]
; %bb.134:                              ;   in Loop: Header=BB0_90 Depth=2
	s_or_b64 exec, exec, s[6:7]
                                        ; implicit-def: $vgpr32_vgpr33
.LBB0_135:                              ;   in Loop: Header=BB0_90 Depth=2
	s_andn2_saveexec_b64 s[2:3], s[2:3]
	s_cbranch_execz .LBB0_88
; %bb.136:                              ;   in Loop: Header=BB0_90 Depth=2
	v_cmp_lt_f64_e32 vcc, v[32:33], v[120:121]
	s_and_saveexec_b64 s[6:7], vcc
	s_xor_b64 s[6:7], exec, s[6:7]
	s_cbranch_execz .LBB0_87
; %bb.137:                              ;   in Loop: Header=BB0_90 Depth=2
	v_pk_mov_b32 v[120:121], v[32:33], v[32:33] op_sel:[0,1]
	s_branch .LBB0_87
.LBB0_138:                              ;   in Loop: Header=BB0_78 Depth=1
	s_or_b64 exec, exec, s[82:83]
	s_mov_b32 s0, 0xa34ca0c3
	s_mov_b32 s1, 0x3f28c5c9
	v_cmp_nlt_f64_e32 vcc, s[0:1], v[34:35]
                                        ; implicit-def: $vgpr120_vgpr121
	s_and_saveexec_b64 s[0:1], vcc
	s_xor_b64 s[0:1], exec, s[0:1]
; %bb.139:                              ;   in Loop: Header=BB0_78 Depth=1
	s_mov_b32 s2, 0
	s_mov_b32 s3, 0x40140000
	v_mul_f64 v[120:121], v[98:99], s[2:3]
; %bb.140:                              ;   in Loop: Header=BB0_78 Depth=1
	s_andn2_saveexec_b64 s[82:83], s[0:1]
	s_cbranch_execz .LBB0_142
; %bb.141:                              ;   in Loop: Header=BB0_78 Depth=1
	v_readlane_b32 s0, v127, 12
	v_readlane_b32 s1, v127, 13
	s_mov_b32 s3, s1
	v_writelane_b32 v127, s2, 12
	s_mov_b32 s0, s88
	v_writelane_b32 v127, s3, 13
	v_mul_f64 v[32:33], v[98:99], s[0:1]
	v_cmp_eq_f64_e32 vcc, 1.0, v[34:35]
	v_mov_b32_e32 v9, 0x3ff00000
	v_mov_b32_e32 v0, 0xbfc99999
	v_readlane_b32 s0, v127, 4
	v_cndmask_b32_e32 v37, v0, v9, vcc
	v_mov_b32_e32 v0, 0x9999999a
	v_frexp_mant_f64_e32 v[16:17], v[34:35]
	v_readlane_b32 s1, v127, 5
	s_mov_b32 s0, s20
	v_cndmask_b32_e64 v36, v0, 0, vcc
	v_cmp_gt_f64_e32 vcc, s[0:1], v[16:17]
	v_cndmask_b32_e64 v9, v9, 2.0, vcc
	v_frexp_exp_i32_f64_e32 v28, v[34:35]
	v_mul_f64 v[16:17], v[16:17], v[8:9]
	v_subbrev_co_u32_e32 v9, vcc, 0, v28, vcc
	v_add_f64 v[28:29], v[16:17], 1.0
	v_rcp_f64_e32 v[34:35], v[28:29]
	v_add_f64 v[42:43], v[28:29], -1.0
	v_add_f64 v[38:39], v[16:17], -1.0
	v_add_f64 v[16:17], v[16:17], -v[42:43]
	v_fma_f64 v[42:43], -v[28:29], v[34:35], 1.0
	v_fmac_f64_e32 v[34:35], v[42:43], v[34:35]
	v_fma_f64 v[42:43], -v[28:29], v[34:35], 1.0
	v_fmac_f64_e32 v[34:35], v[42:43], v[34:35]
	v_mul_f64 v[42:43], v[38:39], v[34:35]
	v_mul_f64 v[44:45], v[28:29], v[42:43]
	v_fma_f64 v[28:29], v[42:43], v[28:29], -v[44:45]
	v_fmac_f64_e32 v[28:29], v[42:43], v[16:17]
	v_add_f64 v[16:17], v[44:45], v[28:29]
	v_add_f64 v[46:47], v[38:39], -v[16:17]
	v_add_f64 v[44:45], v[16:17], -v[44:45]
	;; [unrolled: 1-line block ×5, first 2 shown]
	v_add_f64 v[16:17], v[28:29], v[16:17]
	v_add_f64 v[16:17], v[46:47], v[16:17]
	v_mul_f64 v[16:17], v[34:35], v[16:17]
	v_add_f64 v[28:29], v[42:43], v[16:17]
	v_add_f64 v[34:35], v[28:29], -v[42:43]
	v_add_f64 v[16:17], v[16:17], -v[34:35]
	v_mul_f64 v[34:35], v[28:29], v[28:29]
	v_fma_f64 v[38:39], v[28:29], v[28:29], -v[34:35]
	v_add_f64 v[42:43], v[16:17], v[16:17]
	v_fmac_f64_e32 v[38:39], v[28:29], v[42:43]
	v_add_f64 v[42:43], v[34:35], v[38:39]
	v_add_f64 v[34:35], v[42:43], -v[34:35]
	v_add_f64 v[34:35], v[38:39], -v[34:35]
	buffer_load_dword v38, off, s[96:99], 0 offset:232 ; 4-byte Folded Reload
	buffer_load_dword v39, off, s[96:99], 0 offset:236 ; 4-byte Folded Reload
	;; [unrolled: 1-line block ×4, first 2 shown]
	s_mov_b32 s2, 0x4222de17
	s_mov_b32 s3, 0x3fbdee67
	s_mov_b32 s6, 0x3b39803f
	v_mul_f64 v[74:75], v[28:29], v[42:43]
	s_mov_b32 s7, 0x3c7abc9e
	v_fma_f64 v[76:77], v[42:43], v[28:29], -v[74:75]
	v_fmac_f64_e32 v[76:77], v[42:43], v[16:17]
	v_fmac_f64_e32 v[76:77], v[34:35], v[28:29]
	v_ldexp_f64 v[72:73], v[16:17], 1
	v_add_f64 v[16:17], v[74:75], v[76:77]
	v_mov_b32_e32 v104, 0x3ff00000
	s_waitcnt vmcnt(2)
	v_fmac_f64_e32 v[38:39], s[2:3], v[42:43]
	s_waitcnt vmcnt(0)
	v_fmac_f64_e32 v[44:45], v[42:43], v[38:39]
	buffer_load_dword v38, off, s[96:99], 0 offset:248 ; 4-byte Folded Reload
	buffer_load_dword v39, off, s[96:99], 0 offset:252 ; 4-byte Folded Reload
	s_mov_b32 s2, 0xfefa39ef
	s_mov_b32 s3, 0x3fe62e42
	s_waitcnt vmcnt(0)
	v_fmac_f64_e32 v[38:39], v[42:43], v[44:45]
	buffer_load_dword v44, off, s[96:99], 0 offset:256 ; 4-byte Folded Reload
	buffer_load_dword v45, off, s[96:99], 0 offset:260 ; 4-byte Folded Reload
	s_waitcnt vmcnt(0)
	v_fmac_f64_e32 v[44:45], v[42:43], v[38:39]
	buffer_load_dword v38, off, s[96:99], 0 offset:264 ; 4-byte Folded Reload
	buffer_load_dword v39, off, s[96:99], 0 offset:268 ; 4-byte Folded Reload
	;; [unrolled: 4-line block ×5, first 2 shown]
	s_waitcnt vmcnt(0)
	v_fmac_f64_e32 v[44:45], v[42:43], v[38:39]
	v_cvt_f64_i32_e32 v[38:39], v9
	v_mul_f64 v[46:47], v[38:39], s[2:3]
	v_fma_f64 v[48:49], v[38:39], s[2:3], -v[46:47]
	v_fmac_f64_e32 v[48:49], s[6:7], v[38:39]
	v_add_f64 v[38:39], v[46:47], v[48:49]
	v_add_f64 v[46:47], v[38:39], -v[46:47]
	v_add_f64 v[46:47], v[48:49], -v[46:47]
	v_ldexp_f64 v[48:49], v[28:29], 1
	v_add_f64 v[28:29], v[16:17], -v[74:75]
	v_mul_f64 v[74:75], v[42:43], v[44:45]
	v_fma_f64 v[42:43], v[42:43], v[44:45], -v[74:75]
	v_fmac_f64_e32 v[42:43], v[34:35], v[44:45]
	s_mov_b32 s3, s1
	v_add_f64 v[34:35], v[74:75], v[42:43]
	v_writelane_b32 v127, s2, 4
	v_add_f64 v[44:45], v[34:35], -v[74:75]
	v_writelane_b32 v127, s3, 5
	v_add_f64 v[42:43], v[42:43], -v[44:45]
	v_add_f64 v[44:45], v[34:35], s[0:1]
	v_readlane_b32 s0, v127, 6
	v_readlane_b32 s1, v127, 7
	s_mov_b32 s0, s20
	s_mov_b32 s3, s1
	v_add_f64 v[74:75], v[44:45], s[0:1]
	s_mov_b32 s0, 0xd5df274d
	s_mov_b32 s1, 0x3c8543b0
	v_add_f64 v[34:35], v[34:35], -v[74:75]
	v_add_f64 v[42:43], v[42:43], s[0:1]
	v_add_f64 v[34:35], v[42:43], v[34:35]
	;; [unrolled: 1-line block ×3, first 2 shown]
	v_add_f64 v[44:45], v[44:45], -v[42:43]
	v_add_f64 v[34:35], v[34:35], v[44:45]
	v_mul_f64 v[44:45], v[16:17], v[42:43]
	v_fma_f64 v[74:75], v[16:17], v[42:43], -v[44:45]
	v_add_f64 v[28:29], v[76:77], -v[28:29]
	v_fmac_f64_e32 v[74:75], v[16:17], v[34:35]
	v_fmac_f64_e32 v[74:75], v[28:29], v[42:43]
	v_add_f64 v[16:17], v[44:45], v[74:75]
	v_add_f64 v[28:29], v[16:17], -v[44:45]
	v_add_f64 v[34:35], v[48:49], v[16:17]
	v_add_f64 v[28:29], v[74:75], -v[28:29]
	v_add_f64 v[42:43], v[34:35], -v[48:49]
	;; [unrolled: 1-line block ×3, first 2 shown]
	v_add_f64 v[28:29], v[72:73], v[28:29]
	v_add_f64 v[16:17], v[28:29], v[16:17]
	v_add_f64 v[28:29], v[34:35], v[16:17]
	v_add_f64 v[34:35], v[28:29], -v[34:35]
	v_add_f64 v[16:17], v[16:17], -v[34:35]
	v_add_f64 v[34:35], v[38:39], v[28:29]
	v_add_f64 v[42:43], v[34:35], -v[38:39]
	v_add_f64 v[44:45], v[34:35], -v[42:43]
	;; [unrolled: 1-line block ×4, first 2 shown]
	v_add_f64 v[28:29], v[28:29], v[38:39]
	v_add_f64 v[38:39], v[46:47], v[16:17]
	v_add_f64 v[42:43], v[38:39], -v[46:47]
	v_add_f64 v[28:29], v[38:39], v[28:29]
	v_add_f64 v[44:45], v[38:39], -v[42:43]
	;; [unrolled: 2-line block ×3, first 2 shown]
	v_add_f64 v[16:17], v[16:17], -v[42:43]
	v_add_f64 v[34:35], v[38:39], -v[34:35]
	v_add_f64 v[16:17], v[16:17], v[44:45]
	v_add_f64 v[28:29], v[28:29], -v[34:35]
	v_add_f64 v[16:17], v[16:17], v[28:29]
	v_add_f64 v[28:29], v[38:39], v[16:17]
	v_add_f64 v[34:35], v[28:29], -v[38:39]
	buffer_load_dword v38, off, s[96:99], 0 offset:296 ; 4-byte Folded Reload
	buffer_load_dword v39, off, s[96:99], 0 offset:300 ; 4-byte Folded Reload
	;; [unrolled: 1-line block ×4, first 2 shown]
	v_add_f64 v[16:17], v[16:17], -v[34:35]
	v_mul_f64 v[34:35], v[36:37], v[28:29]
	v_fma_f64 v[28:29], v[36:37], v[28:29], -v[34:35]
	v_fmac_f64_e32 v[28:29], v[36:37], v[16:17]
	v_writelane_b32 v127, s2, 6
	v_add_f64 v[16:17], v[34:35], v[28:29]
	v_cmp_class_f64_e64 vcc, v[34:35], s37
	s_mov_b32 s0, 0x652b82fe
	v_writelane_b32 v127, s3, 7
	v_add_f64 v[36:37], v[16:17], -v[34:35]
	v_cndmask_b32_e32 v17, v17, v35, vcc
	v_cndmask_b32_e32 v16, v16, v34, vcc
	s_mov_b32 s1, 0x3ff71547
	v_mul_f64 v[34:35], v[16:17], s[0:1]
	v_readlane_b32 s0, v127, 8
	v_readlane_b32 s1, v127, 9
	s_mov_b32 s3, s1
	v_writelane_b32 v127, s0, 8
	v_writelane_b32 v127, s1, 9
	v_readlane_b32 s0, v127, 10
	v_readlane_b32 s1, v127, 11
	v_rndne_f64_e32 v[34:35], v[34:35]
	s_mov_b32 s7, s1
	v_writelane_b32 v127, s0, 10
	v_add_f64 v[28:29], v[28:29], -v[36:37]
	v_fma_f64 v[36:37], s[2:3], v[34:35], v[16:17]
	v_writelane_b32 v127, s1, 11
	s_mov_b32 s0, 0x6a5dcb37
	v_fmac_f64_e32 v[36:37], s[6:7], v[34:35]
	s_mov_b32 s1, 0x3e5ade15
	v_cmp_neq_f64_e64 vcc, |v[16:17]|, s[34:35]
	v_cndmask_b32_e32 v29, 0, v29, vcc
	v_cndmask_b32_e32 v28, 0, v28, vcc
	v_cvt_i32_f64_e32 v9, v[34:35]
	s_waitcnt vmcnt(2)
	v_fmac_f64_e32 v[38:39], s[0:1], v[36:37]
	s_waitcnt vmcnt(0)
	v_fmac_f64_e32 v[42:43], v[36:37], v[38:39]
	buffer_load_dword v38, off, s[96:99], 0 offset:312 ; 4-byte Folded Reload
	buffer_load_dword v39, off, s[96:99], 0 offset:316 ; 4-byte Folded Reload
	s_mov_b32 s0, 0
	s_mov_b32 s1, 0x40900000
	v_cmp_lt_f64_e32 vcc, s[0:1], v[16:17]
	s_mov_b32 s0, 0
	s_mov_b32 s1, 0xc090cc00
	v_cmp_ngt_f64_e64 s[0:1], s[0:1], v[16:17]
	s_waitcnt vmcnt(0)
	v_fmac_f64_e32 v[38:39], v[36:37], v[42:43]
	buffer_load_dword v42, off, s[96:99], 0 offset:320 ; 4-byte Folded Reload
	buffer_load_dword v43, off, s[96:99], 0 offset:324 ; 4-byte Folded Reload
	s_waitcnt vmcnt(0)
	v_fmac_f64_e32 v[42:43], v[36:37], v[38:39]
	buffer_load_dword v38, off, s[96:99], 0 offset:328 ; 4-byte Folded Reload
	buffer_load_dword v39, off, s[96:99], 0 offset:332 ; 4-byte Folded Reload
	;; [unrolled: 1-line block ×6, first 2 shown]
	s_waitcnt vmcnt(4)
	v_fmac_f64_e32 v[38:39], v[36:37], v[42:43]
	s_waitcnt vmcnt(1)
	v_mov_b32_e32 v0, v4
	s_waitcnt vmcnt(0)
	buffer_store_dword v4, off, s[96:99], 0 offset:208 ; 4-byte Folded Spill
	s_nop 0
	buffer_store_dword v5, off, s[96:99], 0 offset:212 ; 4-byte Folded Spill
	v_pk_mov_b32 v[42:43], v[0:1], v[0:1] op_sel:[0,1]
	buffer_load_dword v0, off, s[96:99], 0 offset:112 ; 4-byte Folded Reload
	buffer_load_dword v1, off, s[96:99], 0 offset:116 ; 4-byte Folded Reload
	;; [unrolled: 1-line block ×4, first 2 shown]
	v_fmac_f64_e32 v[42:43], v[36:37], v[38:39]
	s_waitcnt vmcnt(1)
	v_mov_b32_e32 v0, v4
	s_waitcnt vmcnt(0)
	buffer_store_dword v4, off, s[96:99], 0 offset:216 ; 4-byte Folded Spill
	s_nop 0
	buffer_store_dword v5, off, s[96:99], 0 offset:220 ; 4-byte Folded Spill
	v_pk_mov_b32 v[38:39], v[0:1], v[0:1] op_sel:[0,1]
	v_fmac_f64_e32 v[38:39], v[36:37], v[42:43]
	buffer_load_dword v42, off, s[96:99], 0 offset:336 ; 4-byte Folded Reload
	buffer_load_dword v43, off, s[96:99], 0 offset:340 ; 4-byte Folded Reload
	s_waitcnt vmcnt(0)
	v_fmac_f64_e32 v[42:43], v[36:37], v[38:39]
	buffer_load_dword v38, off, s[96:99], 0 offset:344 ; 4-byte Folded Reload
	buffer_load_dword v39, off, s[96:99], 0 offset:348 ; 4-byte Folded Reload
	s_waitcnt vmcnt(0)
	v_fmac_f64_e32 v[38:39], v[36:37], v[42:43]
	v_fma_f64 v[38:39], v[36:37], v[38:39], 1.0
	v_fma_f64 v[36:37], v[36:37], v[38:39], 1.0
	v_ldexp_f64 v[34:35], v[36:37], v9
	v_mov_b32_e32 v36, 0x7ff00000
	v_cndmask_b32_e64 v9, v34, 0, vcc
	v_cndmask_b32_e32 v36, v35, v36, vcc
	v_and_b32_e32 v35, 0x7fffffff, v35
	v_cndmask_b32_e64 v17, 0, v36, s[0:1]
	v_cndmask_b32_e64 v16, 0, v9, s[0:1]
	v_cmp_eq_f64_e64 s[2:3], s[34:35], v[34:35]
	v_pk_mov_b32 v[36:37], v[16:17], v[16:17] op_sel:[0,1]
	s_or_b64 s[2:3], vcc, s[2:3]
	v_fmac_f64_e32 v[36:37], v[36:37], v[28:29]
	s_and_b64 vcc, s[0:1], s[2:3]
	v_cndmask_b32_e32 v17, v37, v17, vcc
	v_cndmask_b32_e32 v16, v36, v16, vcc
	v_mul_f64 v[120:121], v[32:33], |v[16:17]|
.LBB0_142:                              ;   in Loop: Header=BB0_78 Depth=1
	s_or_b64 exec, exec, s[82:83]
	buffer_load_dword v4, off, s[96:99], 0  ; 4-byte Folded Reload
	buffer_load_dword v5, off, s[96:99], 0 offset:4 ; 4-byte Folded Reload
	buffer_load_dword v0, off, s[96:99], 0 offset:200 ; 4-byte Folded Reload
	;; [unrolled: 1-line block ×3, first 2 shown]
	s_mov_b32 s0, 0x43b990ee
	s_mov_b32 s1, 0x3fb90ee6
	;; [unrolled: 1-line block ×5, first 2 shown]
	v_fmac_f64_e32 v[2:3], s[0:1], v[96:97]
	s_mov_b32 s7, 0x3fcaef9f
	s_mov_b32 s22, 0x85dab4b0
	v_fmac_f64_e32 v[2:3], s[2:3], v[124:125]
	s_mov_b32 s23, 0x3fd280a6
	v_fmac_f64_e32 v[2:3], s[6:7], v[50:51]
	v_fmac_f64_e32 v[2:3], s[22:23], v[68:69]
	s_waitcnt vmcnt(2)
	v_fma_f64 v[32:33], s[0:1], v[112:113], v[4:5]
	s_mov_b32 s0, 0
	v_fmac_f64_e32 v[32:33], s[2:3], v[86:87]
	s_mov_b32 s1, 0x40490000
	v_fmac_f64_e32 v[32:33], s[6:7], v[118:119]
	v_cmp_gt_f64_e32 vcc, s[0:1], v[2:3]
	s_waitcnt vmcnt(0)
	v_cmp_gt_f64_e64 s[0:1], v[2:3], v[0:1]
	v_fmac_f64_e32 v[32:33], s[22:23], v[70:71]
	s_and_b64 s[22:23], vcc, s[0:1]
	s_xor_b64 s[6:7], s[22:23], -1
                                        ; implicit-def: $sgpr2_sgpr3
	s_and_saveexec_b64 s[0:1], s[22:23]
	s_cbranch_execz .LBB0_144
; %bb.143:                              ;   in Loop: Header=BB0_78 Depth=1
	v_readlane_b32 s2, v127, 16
	v_readlane_b32 s3, v127, 17
	s_mov_b32 s3, s69
	v_add_f64 v[0:1], v[4:5], s[2:3]
	v_add_f64 v[4:5], v[32:33], s[2:3]
	s_mov_b32 s22, s2
	v_mul_f64 v[0:1], v[0:1], v[4:5]
	v_writelane_b32 v127, s22, 16
	v_cmp_ngt_f64_e32 vcc, 0, v[0:1]
	v_writelane_b32 v127, s23, 17
	s_andn2_b64 s[6:7], s[6:7], exec
	s_and_b64 s[22:23], vcc, exec
	s_mov_b64 s[2:3], -1
	s_or_b64 s[6:7], s[6:7], s[22:23]
.LBB0_144:                              ;   in Loop: Header=BB0_78 Depth=1
	s_or_b64 exec, exec, s[0:1]
	v_readlane_b32 s22, v127, 20
	v_readlane_b32 s23, v127, 21
	s_andn2_b64 s[22:23], s[22:23], exec
	s_and_b64 s[2:3], s[2:3], exec
	s_mov_b64 s[0:1], -1
	s_or_b64 s[62:63], s[22:23], s[2:3]
	s_and_saveexec_b64 s[2:3], s[6:7]
	s_cbranch_execz .LBB0_77
; %bb.145:                              ;   in Loop: Header=BB0_78 Depth=1
	buffer_load_dword v0, off, s[96:99], 0 offset:192 ; 4-byte Folded Reload
	buffer_load_dword v1, off, s[96:99], 0 offset:196 ; 4-byte Folded Reload
	s_mov_b32 s0, 0x43b990ee
	s_mov_b32 s1, 0x3fb90ee6
	;; [unrolled: 1-line block ×8, first 2 shown]
	v_fmac_f64_e32 v[24:25], s[0:1], v[100:101]
	v_fmac_f64_e32 v[20:21], s[0:1], v[116:117]
	;; [unrolled: 1-line block ×8, first 2 shown]
	s_andn2_b64 s[62:63], s[62:63], exec
	s_waitcnt vmcnt(0)
	v_fmac_f64_e32 v[0:1], s[0:1], v[58:59]
	v_fmac_f64_e32 v[0:1], s[6:7], v[64:65]
	;; [unrolled: 1-line block ×4, first 2 shown]
	buffer_store_dword v0, off, s[96:99], 0 offset:192 ; 4-byte Folded Spill
	s_nop 0
	buffer_store_dword v1, off, s[96:99], 0 offset:196 ; 4-byte Folded Spill
	buffer_load_dword v0, off, s[96:99], 0 offset:184 ; 4-byte Folded Reload
	s_nop 0
	buffer_load_dword v1, off, s[96:99], 0 offset:188 ; 4-byte Folded Reload
	s_waitcnt vmcnt(0)
	v_fmac_f64_e32 v[0:1], s[0:1], v[56:57]
	v_fmac_f64_e32 v[0:1], s[6:7], v[60:61]
	;; [unrolled: 1-line block ×4, first 2 shown]
	buffer_store_dword v0, off, s[96:99], 0 offset:184 ; 4-byte Folded Spill
	s_nop 0
	buffer_store_dword v1, off, s[96:99], 0 offset:188 ; 4-byte Folded Spill
	buffer_load_dword v0, off, s[96:99], 0 offset:8 ; 4-byte Folded Reload
	s_nop 0
	buffer_load_dword v1, off, s[96:99], 0 offset:12 ; 4-byte Folded Reload
	s_mov_b32 s0, 0
	s_mov_b32 s1, 0x408f4000
	v_cmp_lt_f64_e32 vcc, s[0:1], v[2:3]
	s_waitcnt vmcnt(0)
	v_cmp_lt_f64_e64 s[0:1], 0, v[0:1]
	buffer_load_dword v0, off, s[96:99], 0 offset:224 ; 4-byte Folded Reload
	buffer_load_dword v1, off, s[96:99], 0 offset:228 ; 4-byte Folded Reload
	s_and_b64 s[0:1], vcc, s[0:1]
	s_waitcnt vmcnt(0)
	v_cmp_lt_f64_e32 vcc, v[2:3], v[0:1]
	s_or_b64 s[0:1], vcc, s[0:1]
	s_orn2_b64 s[0:1], s[0:1], exec
	s_branch .LBB0_77
.LBB0_146:
	v_readlane_b32 s0, v127, 2
	v_readlane_b32 s1, v127, 3
	s_or_b64 exec, exec, s[0:1]
	s_and_saveexec_b64 s[0:1], s[2:3]
	s_xor_b64 s[0:1], exec, s[0:1]
	s_cbranch_execz .LBB0_148
; %bb.147:
	s_mov_b32 s0, 0
	s_brev_b32 s1, 8
	v_cmp_gt_f64_e32 vcc, s[0:1], v[2:3]
	v_cndmask_b32_e64 v0, 0, 1, vcc
	v_lshlrev_b32_e32 v0, 8, v0
	v_ldexp_f64 v[0:1], v[2:3], v0
	v_rsq_f64_e32 v[4:5], v[0:1]
	v_mov_b32_e32 v16, 0xffffff80
	v_mov_b32_e32 v17, 0x260
	v_mul_f64 v[6:7], v[2:3], v[2:3]
	v_mul_f64 v[8:9], v[0:1], v[4:5]
	v_mul_f64 v[4:5], v[4:5], 0.5
	v_fma_f64 v[10:11], -v[4:5], v[8:9], 0.5
	v_fmac_f64_e32 v[8:9], v[8:9], v[10:11]
	v_fma_f64 v[12:13], -v[8:9], v[8:9], v[0:1]
	v_fmac_f64_e32 v[4:5], v[4:5], v[10:11]
	v_fmac_f64_e32 v[8:9], v[12:13], v[4:5]
	v_fma_f64 v[10:11], -v[8:9], v[8:9], v[0:1]
	v_fmac_f64_e32 v[8:9], v[10:11], v[4:5]
	v_cndmask_b32_e32 v4, 0, v16, vcc
	v_ldexp_f64 v[4:5], v[8:9], v4
	buffer_load_dword v8, off, s[96:99], 0 offset:352 ; 4-byte Folded Reload
	buffer_load_dword v9, off, s[96:99], 0 offset:356 ; 4-byte Folded Reload
	;; [unrolled: 1-line block ×4, first 2 shown]
	v_cmp_class_f64_e32 vcc, v[0:1], v17
	v_cndmask_b32_e32 v1, v5, v1, vcc
	v_cndmask_b32_e32 v0, v4, v0, vcc
	v_fma_f64 v[4:5], s[12:13], v[0:1], v[6:7]
	v_fmac_f64_e32 v[6:7], 0xc0080000, v[2:3]
	s_waitcnt vmcnt(2)
	v_fmac_f64_e32 v[6:7], v[8:9], v[0:1]
	v_cmp_gt_f64_e32 vcc, s[0:1], v[6:7]
	v_cndmask_b32_e64 v8, 0, 1, vcc
	v_lshlrev_b32_e32 v8, 8, v8
	v_ldexp_f64 v[6:7], v[6:7], v8
	v_rsq_f64_e32 v[8:9], v[6:7]
	v_mul_f64 v[10:11], v[6:7], v[8:9]
	v_mul_f64 v[8:9], v[8:9], 0.5
	v_fma_f64 v[12:13], -v[8:9], v[10:11], 0.5
	v_fmac_f64_e32 v[10:11], v[10:11], v[12:13]
	v_fma_f64 v[14:15], -v[10:11], v[10:11], v[6:7]
	v_fmac_f64_e32 v[8:9], v[8:9], v[12:13]
	v_fmac_f64_e32 v[10:11], v[14:15], v[8:9]
	v_fma_f64 v[12:13], -v[10:11], v[10:11], v[6:7]
	v_fmac_f64_e32 v[10:11], v[12:13], v[8:9]
	v_cndmask_b32_e32 v8, 0, v16, vcc
	v_ldexp_f64 v[8:9], v[10:11], v8
	s_waitcnt vmcnt(0)
	v_div_scale_f64 v[10:11], s[0:1], v[0:1], v[0:1], v[18:19]
	v_rcp_f64_e32 v[12:13], v[10:11]
	v_cmp_class_f64_e32 vcc, v[6:7], v17
	v_cndmask_b32_e32 v7, v9, v7, vcc
	v_cndmask_b32_e32 v6, v8, v6, vcc
	v_fma_f64 v[8:9], -v[10:11], v[12:13], 1.0
	v_fmac_f64_e32 v[12:13], v[12:13], v[8:9]
	v_fma_f64 v[8:9], -v[10:11], v[12:13], 1.0
	v_fmac_f64_e32 v[12:13], v[12:13], v[8:9]
	v_div_scale_f64 v[8:9], vcc, v[18:19], v[0:1], v[18:19]
	v_mul_f64 v[14:15], v[8:9], v[12:13]
	v_fma_f64 v[8:9], -v[10:11], v[14:15], v[8:9]
	v_mul_f64 v[2:3], v[2:3], v[6:7]
	s_nop 0
	v_div_fmas_f64 v[8:9], v[8:9], v[12:13], v[14:15]
	v_div_fixup_f64 v[0:1], v[8:9], v[0:1], v[18:19]
	v_div_scale_f64 v[8:9], s[0:1], v[6:7], v[6:7], v[0:1]
	v_rcp_f64_e32 v[10:11], v[8:9]
	v_fma_f64 v[12:13], -v[8:9], v[10:11], 1.0
	v_fmac_f64_e32 v[10:11], v[10:11], v[12:13]
	v_fma_f64 v[12:13], -v[8:9], v[10:11], 1.0
	v_fmac_f64_e32 v[10:11], v[10:11], v[12:13]
	v_div_scale_f64 v[12:13], vcc, v[0:1], v[6:7], v[0:1]
	v_mul_f64 v[14:15], v[12:13], v[10:11]
	v_fma_f64 v[8:9], -v[8:9], v[14:15], v[12:13]
	v_div_scale_f64 v[12:13], s[0:1], v[2:3], v[2:3], v[4:5]
	v_rcp_f64_e32 v[16:17], v[12:13]
	v_div_fmas_f64 v[8:9], v[8:9], v[10:11], v[14:15]
	v_div_fixup_f64 v[0:1], v[8:9], v[6:7], v[0:1]
	v_fma_f64 v[6:7], -v[12:13], v[16:17], 1.0
	v_fmac_f64_e32 v[16:17], v[16:17], v[6:7]
	v_fma_f64 v[6:7], -v[12:13], v[16:17], 1.0
	v_fmac_f64_e32 v[16:17], v[16:17], v[6:7]
	v_div_scale_f64 v[6:7], vcc, v[4:5], v[2:3], v[4:5]
	v_mul_f64 v[8:9], v[6:7], v[16:17]
	v_fma_f64 v[6:7], -v[12:13], v[8:9], v[6:7]
	s_nop 1
	v_div_fmas_f64 v[6:7], v[6:7], v[16:17], v[8:9]
	v_div_fixup_f64 v[2:3], v[6:7], v[2:3], v[4:5]
	v_add_f64 v[0:1], v[0:1], -v[2:3]
	v_div_scale_f64 v[2:3], s[0:1], v[0:1], v[0:1], -1.0
	v_rcp_f64_e32 v[4:5], v[2:3]
	v_fma_f64 v[6:7], -v[2:3], v[4:5], 1.0
	v_fmac_f64_e32 v[4:5], v[4:5], v[6:7]
	v_fma_f64 v[6:7], -v[2:3], v[4:5], 1.0
	v_fmac_f64_e32 v[4:5], v[4:5], v[6:7]
	v_div_scale_f64 v[6:7], vcc, -1.0, v[0:1], -1.0
	v_mul_f64 v[8:9], v[6:7], v[4:5]
	v_fma_f64 v[2:3], -v[2:3], v[8:9], v[6:7]
	s_nop 1
	v_div_fmas_f64 v[2:3], v[2:3], v[4:5], v[8:9]
	v_div_fixup_f64 v[0:1], v[2:3], v[0:1], -1.0
	buffer_load_dword v2, off, s[96:99], 0 offset:360 ; 4-byte Folded Reload
	buffer_load_dword v3, off, s[96:99], 0 offset:364 ; 4-byte Folded Reload
	s_waitcnt vmcnt(0)
	global_store_dwordx2 v[2:3], v[0:1], off
.LBB0_148:
	s_endpgm
	.section	.rodata,"a",@progbits
	.p2align	6, 0x0
	.amdhsa_kernel _Z5task1PdS_ii
		.amdhsa_group_segment_fixed_size 0
		.amdhsa_private_segment_fixed_size 372
		.amdhsa_kernarg_size 280
		.amdhsa_user_sgpr_count 6
		.amdhsa_user_sgpr_private_segment_buffer 1
		.amdhsa_user_sgpr_dispatch_ptr 0
		.amdhsa_user_sgpr_queue_ptr 0
		.amdhsa_user_sgpr_kernarg_segment_ptr 1
		.amdhsa_user_sgpr_dispatch_id 0
		.amdhsa_user_sgpr_flat_scratch_init 0
		.amdhsa_user_sgpr_kernarg_preload_length 0
		.amdhsa_user_sgpr_kernarg_preload_offset 0
		.amdhsa_user_sgpr_private_segment_size 0
		.amdhsa_uses_dynamic_stack 0
		.amdhsa_system_sgpr_private_segment_wavefront_offset 1
		.amdhsa_system_sgpr_workgroup_id_x 1
		.amdhsa_system_sgpr_workgroup_id_y 1
		.amdhsa_system_sgpr_workgroup_id_z 0
		.amdhsa_system_sgpr_workgroup_info 0
		.amdhsa_system_vgpr_workitem_id 1
		.amdhsa_next_free_vgpr 128
		.amdhsa_next_free_sgpr 100
		.amdhsa_accum_offset 128
		.amdhsa_reserve_vcc 1
		.amdhsa_reserve_flat_scratch 0
		.amdhsa_float_round_mode_32 0
		.amdhsa_float_round_mode_16_64 0
		.amdhsa_float_denorm_mode_32 3
		.amdhsa_float_denorm_mode_16_64 3
		.amdhsa_dx10_clamp 1
		.amdhsa_ieee_mode 1
		.amdhsa_fp16_overflow 0
		.amdhsa_tg_split 0
		.amdhsa_exception_fp_ieee_invalid_op 0
		.amdhsa_exception_fp_denorm_src 0
		.amdhsa_exception_fp_ieee_div_zero 0
		.amdhsa_exception_fp_ieee_overflow 0
		.amdhsa_exception_fp_ieee_underflow 0
		.amdhsa_exception_fp_ieee_inexact 0
		.amdhsa_exception_int_div_zero 0
	.end_amdhsa_kernel
	.text
.Lfunc_end0:
	.size	_Z5task1PdS_ii, .Lfunc_end0-_Z5task1PdS_ii
                                        ; -- End function
	.section	.AMDGPU.csdata,"",@progbits
; Kernel info:
; codeLenInByte = 51472
; NumSgprs: 104
; NumVgprs: 128
; NumAgprs: 0
; TotalNumVgprs: 128
; ScratchSize: 372
; MemoryBound: 1
; FloatMode: 240
; IeeeMode: 1
; LDSByteSize: 0 bytes/workgroup (compile time only)
; SGPRBlocks: 12
; VGPRBlocks: 15
; NumSGPRsForWavesPerEU: 104
; NumVGPRsForWavesPerEU: 128
; AccumOffset: 128
; Occupancy: 4
; WaveLimiterHint : 0
; COMPUTE_PGM_RSRC2:SCRATCH_EN: 1
; COMPUTE_PGM_RSRC2:USER_SGPR: 6
; COMPUTE_PGM_RSRC2:TRAP_HANDLER: 0
; COMPUTE_PGM_RSRC2:TGID_X_EN: 1
; COMPUTE_PGM_RSRC2:TGID_Y_EN: 1
; COMPUTE_PGM_RSRC2:TGID_Z_EN: 0
; COMPUTE_PGM_RSRC2:TIDIG_COMP_CNT: 1
; COMPUTE_PGM_RSRC3_GFX90A:ACCUM_OFFSET: 31
; COMPUTE_PGM_RSRC3_GFX90A:TG_SPLIT: 0
	.text
	.protected	_Z5task2PdS_ii          ; -- Begin function _Z5task2PdS_ii
	.globl	_Z5task2PdS_ii
	.p2align	8
	.type	_Z5task2PdS_ii,@function
_Z5task2PdS_ii:                         ; @_Z5task2PdS_ii
; %bb.0:
	s_mov_b64 s[98:99], s[2:3]
	s_mov_b64 s[96:97], s[0:1]
	s_load_dwordx4 s[16:19], s[4:5], 0x8
	s_load_dword s2, s[4:5], 0x18
	s_load_dword s3, s[4:5], 0x24
	s_add_u32 s96, s96, s8
	s_addc_u32 s97, s97, 0
	s_add_u32 s0, s4, 24
	s_waitcnt lgkmcnt(0)
	s_mul_i32 s2, s2, s18
	s_load_dwordx2 s[8:9], s[16:17], 0x10
	s_addc_u32 s1, s5, 0
	s_and_b32 s3, s3, 0xffff
	s_add_i32 s2, s2, s6
	s_mul_i32 s2, s2, s3
	v_and_b32_e32 v1, 0x3ff, v0
	v_add_u32_e32 v78, s2, v1
	v_cvt_f64_u32_e32 v[2:3], v78
	s_waitcnt lgkmcnt(0)
	v_cmp_nle_f64_e32 vcc, s[8:9], v[2:3]
	s_and_saveexec_b64 s[2:3], vcc
	s_cbranch_execz .LBB1_175
; %bb.1:
	s_load_dword s2, s[0:1], 0x4
	s_load_dword s3, s[0:1], 0xc
	v_bfe_u32 v0, v0, 10, 10
	s_waitcnt lgkmcnt(0)
	s_mul_i32 s0, s2, s19
	s_lshr_b32 s1, s3, 16
	s_add_i32 s0, s0, s7
	s_mul_i32 s0, s0, s1
	v_add_u32_e32 v79, s0, v0
	v_cvt_f64_u32_e32 v[0:1], v79
	v_cmp_nle_f64_e32 vcc, s[8:9], v[0:1]
	s_and_b64 exec, exec, vcc
	s_cbranch_execz .LBB1_175
; %bb.2:
	s_load_dwordx4 s[12:15], s[16:17], 0x0
	v_mov_b32_e32 v4, 0xa1fae712
	v_mov_b32_e32 v5, 0x3f91df46
	s_mov_b32 s0, 0
                                        ; implicit-def: $vgpr127 : SGPR spill to VGPR lane
	s_mov_b32 s1, 0x41d00000
	s_waitcnt lgkmcnt(0)
	v_mul_f64 v[10:11], s[14:15], v[4:5]
	v_writelane_b32 v127, s8, 0
	v_cmp_nlt_f64_e64 s[10:11], |v[10:11]|, s[0:1]
	v_writelane_b32 v127, s9, 1
	s_and_b64 vcc, exec, s[10:11]
	v_trig_preop_f64 v[12:13], |v[10:11]|, 0
	v_trig_preop_f64 v[8:9], |v[10:11]|, 1
	;; [unrolled: 1-line block ×3, first 2 shown]
	s_cbranch_vccz .LBB1_4
; %bb.3:
	s_mov_b32 s0, 0
	s_mov_b32 s1, 0x7b000000
	s_movk_i32 s2, 0xff80
	v_and_b32_e32 v14, 0x7fffffff, v11
	v_ldexp_f64 v[4:5], |v[10:11]|, s2
	v_cmp_ge_f64_e64 vcc, |v[10:11]|, s[0:1]
	v_cndmask_b32_e32 v5, v14, v5, vcc
	v_cndmask_b32_e32 v4, v10, v4, vcc
	v_mul_f64 v[16:17], v[12:13], v[4:5]
	v_mul_f64 v[14:15], v[8:9], v[4:5]
	v_fma_f64 v[18:19], v[12:13], v[4:5], -v[16:17]
	v_add_f64 v[20:21], v[14:15], v[18:19]
	v_add_f64 v[22:23], v[16:17], v[20:21]
	s_mov_b32 s0, 0
	v_ldexp_f64 v[24:25], v[22:23], -2
	s_mov_b32 s1, 0x7ff00000
	v_fract_f64_e32 v[26:27], v[24:25]
	v_cmp_neq_f64_e64 vcc, |v[24:25]|, s[0:1]
	v_cndmask_b32_e32 v25, 0, v27, vcc
	v_cndmask_b32_e32 v24, 0, v26, vcc
	v_add_f64 v[26:27], v[20:21], -v[14:15]
	v_add_f64 v[18:19], v[18:19], -v[26:27]
	;; [unrolled: 1-line block ×4, first 2 shown]
	v_add_f64 v[18:19], v[18:19], v[26:27]
	v_fma_f64 v[14:15], v[8:9], v[4:5], -v[14:15]
	v_mul_f64 v[26:27], v[6:7], v[4:5]
	v_add_f64 v[28:29], v[26:27], v[14:15]
	v_add_f64 v[30:31], v[28:29], v[18:19]
	v_add_f64 v[16:17], v[22:23], -v[16:17]
	v_add_f64 v[22:23], v[30:31], -v[28:29]
	;; [unrolled: 1-line block ×5, first 2 shown]
	v_add_f64 v[18:19], v[18:19], v[22:23]
	v_add_f64 v[22:23], v[28:29], -v[26:27]
	v_add_f64 v[14:15], v[14:15], -v[22:23]
	;; [unrolled: 1-line block ×5, first 2 shown]
	v_add_f64 v[20:21], v[16:17], v[30:31]
	v_add_f64 v[14:15], v[14:15], v[22:23]
	v_add_f64 v[16:17], v[20:21], -v[16:17]
	v_add_f64 v[14:15], v[14:15], v[18:19]
	v_fma_f64 v[4:5], v[6:7], v[4:5], -v[26:27]
	v_add_f64 v[16:17], v[30:31], -v[16:17]
	v_add_f64 v[4:5], v[4:5], v[14:15]
	v_ldexp_f64 v[14:15], v[24:25], 2
	v_add_f64 v[4:5], v[16:17], v[4:5]
	v_add_f64 v[16:17], v[20:21], v[14:15]
	v_cmp_gt_f64_e32 vcc, 0, v[16:17]
	s_and_b64 s[0:1], vcc, exec
	s_mov_b32 s6, 0
	s_cselect_b32 s7, 0x40100000, 0
	v_add_f64 v[14:15], v[14:15], s[6:7]
	v_add_f64 v[16:17], v[20:21], v[14:15]
	v_cvt_i32_f64_e32 v18, v[16:17]
	v_cvt_f64_i32_e32 v[16:17], v18
	v_add_f64 v[14:15], v[14:15], -v[16:17]
	v_add_f64 v[16:17], v[20:21], v[14:15]
	v_cmp_le_f64_e32 vcc, 0.5, v[16:17]
	v_add_f64 v[14:15], v[16:17], -v[14:15]
	s_and_b64 s[0:1], vcc, exec
	v_add_f64 v[14:15], v[20:21], -v[14:15]
	s_cselect_b32 s7, 0x3ff00000, 0
	v_add_f64 v[4:5], v[4:5], v[14:15]
	v_addc_co_u32_e64 v30, s[0:1], 0, v18, vcc
	v_add_f64 v[14:15], v[16:17], -s[6:7]
	v_add_f64 v[16:17], v[14:15], v[4:5]
	s_mov_b32 s0, 0x54442d18
	v_add_f64 v[14:15], v[16:17], -v[14:15]
	s_mov_b32 s1, 0x3ff921fb
	v_add_f64 v[4:5], v[4:5], -v[14:15]
	v_mul_f64 v[14:15], v[16:17], s[0:1]
	s_mov_b32 s6, 0x33145c07
	v_fma_f64 v[18:19], v[16:17], s[0:1], -v[14:15]
	s_mov_b32 s7, 0x3c91a626
	v_fmac_f64_e32 v[18:19], s[6:7], v[16:17]
	v_fmac_f64_e32 v[18:19], s[0:1], v[4:5]
	v_add_f64 v[4:5], v[14:15], v[18:19]
	v_add_f64 v[14:15], v[4:5], -v[14:15]
	v_add_f64 v[14:15], v[18:19], -v[14:15]
	s_cbranch_execz .LBB1_5
	s_branch .LBB1_6
.LBB1_4:
                                        ; implicit-def: $vgpr30
                                        ; implicit-def: $vgpr4_vgpr5
                                        ; implicit-def: $vgpr14_vgpr15
.LBB1_5:
	s_mov_b32 s0, 0x6dc9c883
	s_mov_b32 s1, 0x3fe45f30
	v_mul_f64 v[4:5], |v[10:11]|, s[0:1]
	s_mov_b32 s0, 0x54442d18
	v_rndne_f64_e32 v[16:17], v[4:5]
	s_mov_b32 s1, 0xbff921fb
	v_fma_f64 v[4:5], v[16:17], s[0:1], |v[10:11]|
	s_mov_b32 s1, 0xbc91a626
	s_mov_b32 s0, 0x33145c00
	v_mul_f64 v[18:19], v[16:17], s[0:1]
	v_add_f64 v[22:23], v[4:5], v[18:19]
	v_fma_f64 v[14:15], s[0:1], v[16:17], v[4:5]
	s_mov_b32 s1, 0x3c91a626
	v_add_f64 v[4:5], v[4:5], -v[22:23]
	v_fma_f64 v[20:21], s[0:1], v[16:17], v[18:19]
	v_add_f64 v[4:5], v[4:5], v[18:19]
	v_add_f64 v[18:19], v[22:23], -v[14:15]
	v_add_f64 v[4:5], v[18:19], v[4:5]
	s_mov_b32 s0, 0x252049c0
	v_add_f64 v[18:19], v[4:5], -v[20:21]
	s_mov_b32 s1, 0xb97b839a
	v_fmac_f64_e32 v[18:19], s[0:1], v[16:17]
	v_add_f64 v[4:5], v[14:15], v[18:19]
	v_add_f64 v[14:15], v[4:5], -v[14:15]
	v_add_f64 v[14:15], v[18:19], -v[14:15]
	v_cvt_i32_f64_e32 v30, v[16:17]
.LBB1_6:
	s_and_b64 vcc, exec, s[10:11]
	s_cbranch_vccz .LBB1_8
; %bb.7:
	s_mov_b32 s0, 0
	s_mov_b32 s1, 0x7b000000
	s_movk_i32 s2, 0xff80
	v_and_b32_e32 v18, 0x7fffffff, v11
	v_ldexp_f64 v[16:17], |v[10:11]|, s2
	v_cmp_ge_f64_e64 vcc, |v[10:11]|, s[0:1]
	v_cndmask_b32_e32 v17, v18, v17, vcc
	v_cndmask_b32_e32 v16, v10, v16, vcc
	v_mul_f64 v[20:21], v[12:13], v[16:17]
	v_mul_f64 v[18:19], v[8:9], v[16:17]
	v_fma_f64 v[22:23], v[12:13], v[16:17], -v[20:21]
	v_add_f64 v[24:25], v[18:19], v[22:23]
	v_add_f64 v[26:27], v[20:21], v[24:25]
	s_mov_b32 s0, 0
	v_ldexp_f64 v[28:29], v[26:27], -2
	s_mov_b32 s1, 0x7ff00000
	v_fract_f64_e32 v[32:33], v[28:29]
	v_cmp_neq_f64_e64 vcc, |v[28:29]|, s[0:1]
	v_cndmask_b32_e32 v29, 0, v33, vcc
	v_cndmask_b32_e32 v28, 0, v32, vcc
	v_add_f64 v[32:33], v[24:25], -v[18:19]
	v_add_f64 v[22:23], v[22:23], -v[32:33]
	;; [unrolled: 1-line block ×4, first 2 shown]
	v_add_f64 v[22:23], v[22:23], v[32:33]
	v_fma_f64 v[18:19], v[8:9], v[16:17], -v[18:19]
	v_mul_f64 v[32:33], v[6:7], v[16:17]
	v_add_f64 v[34:35], v[32:33], v[18:19]
	v_add_f64 v[36:37], v[34:35], v[22:23]
	v_add_f64 v[20:21], v[26:27], -v[20:21]
	v_add_f64 v[26:27], v[36:37], -v[34:35]
	;; [unrolled: 1-line block ×5, first 2 shown]
	v_add_f64 v[22:23], v[22:23], v[26:27]
	v_add_f64 v[26:27], v[34:35], -v[32:33]
	v_add_f64 v[18:19], v[18:19], -v[26:27]
	;; [unrolled: 1-line block ×5, first 2 shown]
	v_add_f64 v[24:25], v[20:21], v[36:37]
	v_add_f64 v[18:19], v[18:19], v[26:27]
	v_add_f64 v[20:21], v[24:25], -v[20:21]
	v_add_f64 v[18:19], v[18:19], v[22:23]
	v_fma_f64 v[16:17], v[6:7], v[16:17], -v[32:33]
	v_add_f64 v[20:21], v[36:37], -v[20:21]
	v_add_f64 v[16:17], v[16:17], v[18:19]
	v_ldexp_f64 v[18:19], v[28:29], 2
	v_add_f64 v[16:17], v[20:21], v[16:17]
	v_add_f64 v[20:21], v[24:25], v[18:19]
	v_cmp_gt_f64_e32 vcc, 0, v[20:21]
	s_and_b64 s[0:1], vcc, exec
	s_mov_b32 s6, 0
	s_cselect_b32 s7, 0x40100000, 0
	v_add_f64 v[18:19], v[18:19], s[6:7]
	v_add_f64 v[20:21], v[24:25], v[18:19]
	v_cvt_i32_f64_e32 v22, v[20:21]
	v_cvt_f64_i32_e32 v[20:21], v22
	v_add_f64 v[18:19], v[18:19], -v[20:21]
	v_add_f64 v[20:21], v[24:25], v[18:19]
	v_cmp_le_f64_e32 vcc, 0.5, v[20:21]
	v_add_f64 v[18:19], v[20:21], -v[18:19]
	s_and_b64 s[0:1], vcc, exec
	v_add_f64 v[18:19], v[24:25], -v[18:19]
	s_cselect_b32 s7, 0x3ff00000, 0
	v_add_f64 v[16:17], v[16:17], v[18:19]
	v_addc_co_u32_e64 v31, s[0:1], 0, v22, vcc
	v_add_f64 v[18:19], v[20:21], -s[6:7]
	v_add_f64 v[20:21], v[18:19], v[16:17]
	s_mov_b32 s0, 0x54442d18
	v_add_f64 v[18:19], v[20:21], -v[18:19]
	s_mov_b32 s1, 0x3ff921fb
	v_add_f64 v[16:17], v[16:17], -v[18:19]
	v_mul_f64 v[18:19], v[20:21], s[0:1]
	s_mov_b32 s6, 0x33145c07
	v_fma_f64 v[22:23], v[20:21], s[0:1], -v[18:19]
	s_mov_b32 s7, 0x3c91a626
	v_fmac_f64_e32 v[22:23], s[6:7], v[20:21]
	v_fmac_f64_e32 v[22:23], s[0:1], v[16:17]
	v_add_f64 v[16:17], v[18:19], v[22:23]
	v_add_f64 v[18:19], v[16:17], -v[18:19]
	v_add_f64 v[18:19], v[22:23], -v[18:19]
	s_cbranch_execz .LBB1_9
	s_branch .LBB1_10
.LBB1_8:
                                        ; implicit-def: $vgpr31
                                        ; implicit-def: $vgpr16_vgpr17
                                        ; implicit-def: $vgpr18_vgpr19
.LBB1_9:
	s_mov_b32 s0, 0x6dc9c883
	s_mov_b32 s1, 0x3fe45f30
	v_mul_f64 v[16:17], |v[10:11]|, s[0:1]
	s_mov_b32 s0, 0x54442d18
	v_rndne_f64_e32 v[20:21], v[16:17]
	s_mov_b32 s1, 0xbff921fb
	v_fma_f64 v[16:17], v[20:21], s[0:1], |v[10:11]|
	s_mov_b32 s1, 0xbc91a626
	s_mov_b32 s0, 0x33145c00
	v_mul_f64 v[22:23], v[20:21], s[0:1]
	v_add_f64 v[26:27], v[16:17], v[22:23]
	v_fma_f64 v[18:19], s[0:1], v[20:21], v[16:17]
	s_mov_b32 s1, 0x3c91a626
	v_add_f64 v[16:17], v[16:17], -v[26:27]
	v_fma_f64 v[24:25], s[0:1], v[20:21], v[22:23]
	v_add_f64 v[16:17], v[16:17], v[22:23]
	v_add_f64 v[22:23], v[26:27], -v[18:19]
	v_add_f64 v[16:17], v[22:23], v[16:17]
	s_mov_b32 s0, 0x252049c0
	v_add_f64 v[22:23], v[16:17], -v[24:25]
	s_mov_b32 s1, 0xb97b839a
	v_fmac_f64_e32 v[22:23], s[0:1], v[20:21]
	v_add_f64 v[16:17], v[18:19], v[22:23]
	v_add_f64 v[18:19], v[16:17], -v[18:19]
	v_add_f64 v[18:19], v[22:23], -v[18:19]
	v_cvt_i32_f64_e32 v31, v[20:21]
.LBB1_10:
	s_and_b64 vcc, exec, s[10:11]
	s_cbranch_vccz .LBB1_12
; %bb.11:
	s_mov_b32 s0, 0
	s_mov_b32 s1, 0x7b000000
	s_movk_i32 s2, 0xff80
	v_and_b32_e32 v22, 0x7fffffff, v11
	v_ldexp_f64 v[20:21], |v[10:11]|, s2
	v_cmp_ge_f64_e64 vcc, |v[10:11]|, s[0:1]
	v_cndmask_b32_e32 v21, v22, v21, vcc
	v_cndmask_b32_e32 v20, v10, v20, vcc
	v_mul_f64 v[24:25], v[12:13], v[20:21]
	v_mul_f64 v[22:23], v[8:9], v[20:21]
	v_fma_f64 v[26:27], v[12:13], v[20:21], -v[24:25]
	v_add_f64 v[28:29], v[22:23], v[26:27]
	v_add_f64 v[32:33], v[24:25], v[28:29]
	s_mov_b32 s0, 0
	v_ldexp_f64 v[34:35], v[32:33], -2
	s_mov_b32 s1, 0x7ff00000
	v_fract_f64_e32 v[36:37], v[34:35]
	v_cmp_neq_f64_e64 vcc, |v[34:35]|, s[0:1]
	v_cndmask_b32_e32 v35, 0, v37, vcc
	v_cndmask_b32_e32 v34, 0, v36, vcc
	v_add_f64 v[36:37], v[28:29], -v[22:23]
	v_add_f64 v[26:27], v[26:27], -v[36:37]
	;; [unrolled: 1-line block ×4, first 2 shown]
	v_add_f64 v[26:27], v[26:27], v[36:37]
	v_fma_f64 v[22:23], v[8:9], v[20:21], -v[22:23]
	v_mul_f64 v[36:37], v[6:7], v[20:21]
	v_add_f64 v[38:39], v[36:37], v[22:23]
	v_add_f64 v[40:41], v[38:39], v[26:27]
	v_add_f64 v[24:25], v[32:33], -v[24:25]
	v_add_f64 v[32:33], v[40:41], -v[38:39]
	;; [unrolled: 1-line block ×5, first 2 shown]
	v_add_f64 v[26:27], v[26:27], v[32:33]
	v_add_f64 v[32:33], v[38:39], -v[36:37]
	v_add_f64 v[22:23], v[22:23], -v[32:33]
	;; [unrolled: 1-line block ×5, first 2 shown]
	v_add_f64 v[28:29], v[24:25], v[40:41]
	v_add_f64 v[22:23], v[22:23], v[32:33]
	v_add_f64 v[24:25], v[28:29], -v[24:25]
	v_add_f64 v[22:23], v[22:23], v[26:27]
	v_fma_f64 v[20:21], v[6:7], v[20:21], -v[36:37]
	v_add_f64 v[24:25], v[40:41], -v[24:25]
	v_add_f64 v[20:21], v[20:21], v[22:23]
	v_ldexp_f64 v[22:23], v[34:35], 2
	v_add_f64 v[20:21], v[24:25], v[20:21]
	v_add_f64 v[24:25], v[28:29], v[22:23]
	v_cmp_gt_f64_e32 vcc, 0, v[24:25]
	s_and_b64 s[0:1], vcc, exec
	s_mov_b32 s6, 0
	s_cselect_b32 s7, 0x40100000, 0
	v_add_f64 v[22:23], v[22:23], s[6:7]
	v_add_f64 v[24:25], v[28:29], v[22:23]
	v_cvt_i32_f64_e32 v26, v[24:25]
	v_cvt_f64_i32_e32 v[24:25], v26
	v_add_f64 v[22:23], v[22:23], -v[24:25]
	v_add_f64 v[24:25], v[28:29], v[22:23]
	v_cmp_le_f64_e32 vcc, 0.5, v[24:25]
	v_add_f64 v[22:23], v[24:25], -v[22:23]
	s_and_b64 s[0:1], vcc, exec
	v_add_f64 v[22:23], v[28:29], -v[22:23]
	s_cselect_b32 s7, 0x3ff00000, 0
	v_add_f64 v[20:21], v[20:21], v[22:23]
	v_addc_co_u32_e64 v32, s[0:1], 0, v26, vcc
	v_add_f64 v[22:23], v[24:25], -s[6:7]
	v_add_f64 v[24:25], v[22:23], v[20:21]
	s_mov_b32 s0, 0x54442d18
	v_add_f64 v[22:23], v[24:25], -v[22:23]
	s_mov_b32 s1, 0x3ff921fb
	v_add_f64 v[20:21], v[20:21], -v[22:23]
	v_mul_f64 v[22:23], v[24:25], s[0:1]
	s_mov_b32 s6, 0x33145c07
	v_fma_f64 v[26:27], v[24:25], s[0:1], -v[22:23]
	s_mov_b32 s7, 0x3c91a626
	v_fmac_f64_e32 v[26:27], s[6:7], v[24:25]
	v_fmac_f64_e32 v[26:27], s[0:1], v[20:21]
	v_add_f64 v[24:25], v[22:23], v[26:27]
	v_add_f64 v[20:21], v[24:25], -v[22:23]
	v_add_f64 v[26:27], v[26:27], -v[20:21]
	s_cbranch_execz .LBB1_13
	s_branch .LBB1_14
.LBB1_12:
                                        ; implicit-def: $vgpr32
                                        ; implicit-def: $vgpr24_vgpr25
                                        ; implicit-def: $vgpr26_vgpr27
.LBB1_13:
	s_mov_b32 s0, 0x6dc9c883
	s_mov_b32 s1, 0x3fe45f30
	v_mul_f64 v[20:21], |v[10:11]|, s[0:1]
	s_mov_b32 s0, 0x54442d18
	v_rndne_f64_e32 v[20:21], v[20:21]
	s_mov_b32 s1, 0xbff921fb
	v_fma_f64 v[22:23], v[20:21], s[0:1], |v[10:11]|
	s_mov_b32 s1, 0xbc91a626
	s_mov_b32 s0, 0x33145c00
	v_mul_f64 v[24:25], v[20:21], s[0:1]
	v_add_f64 v[32:33], v[22:23], v[24:25]
	v_fma_f64 v[26:27], s[0:1], v[20:21], v[22:23]
	s_mov_b32 s1, 0x3c91a626
	v_add_f64 v[22:23], v[22:23], -v[32:33]
	v_fma_f64 v[28:29], s[0:1], v[20:21], v[24:25]
	v_add_f64 v[22:23], v[22:23], v[24:25]
	v_add_f64 v[24:25], v[32:33], -v[26:27]
	v_add_f64 v[22:23], v[24:25], v[22:23]
	s_mov_b32 s0, 0x252049c0
	v_add_f64 v[22:23], v[22:23], -v[28:29]
	s_mov_b32 s1, 0xb97b839a
	v_fmac_f64_e32 v[22:23], s[0:1], v[20:21]
	v_add_f64 v[24:25], v[26:27], v[22:23]
	v_add_f64 v[26:27], v[24:25], -v[26:27]
	v_add_f64 v[26:27], v[22:23], -v[26:27]
	v_cvt_i32_f64_e32 v32, v[20:21]
.LBB1_14:
	s_and_b64 vcc, exec, s[10:11]
	s_cbranch_vccz .LBB1_16
; %bb.15:
	s_mov_b32 s0, 0
	s_mov_b32 s1, 0x7b000000
	s_movk_i32 s2, 0xff80
	v_and_b32_e32 v22, 0x7fffffff, v11
	v_ldexp_f64 v[20:21], |v[10:11]|, s2
	v_cmp_ge_f64_e64 vcc, |v[10:11]|, s[0:1]
	v_cndmask_b32_e32 v21, v22, v21, vcc
	v_cndmask_b32_e32 v20, v10, v20, vcc
	v_mul_f64 v[28:29], v[12:13], v[20:21]
	v_mul_f64 v[22:23], v[8:9], v[20:21]
	v_fma_f64 v[34:35], v[12:13], v[20:21], -v[28:29]
	v_add_f64 v[36:37], v[22:23], v[34:35]
	v_add_f64 v[38:39], v[28:29], v[36:37]
	s_mov_b32 s0, 0
	v_ldexp_f64 v[40:41], v[38:39], -2
	s_mov_b32 s1, 0x7ff00000
	v_fract_f64_e32 v[42:43], v[40:41]
	v_cmp_neq_f64_e64 vcc, |v[40:41]|, s[0:1]
	v_cndmask_b32_e32 v41, 0, v43, vcc
	v_cndmask_b32_e32 v40, 0, v42, vcc
	v_add_f64 v[42:43], v[36:37], -v[22:23]
	v_add_f64 v[34:35], v[34:35], -v[42:43]
	;; [unrolled: 1-line block ×4, first 2 shown]
	v_add_f64 v[34:35], v[34:35], v[42:43]
	v_fma_f64 v[22:23], v[8:9], v[20:21], -v[22:23]
	v_mul_f64 v[42:43], v[6:7], v[20:21]
	v_add_f64 v[44:45], v[42:43], v[22:23]
	v_add_f64 v[46:47], v[44:45], v[34:35]
	v_add_f64 v[28:29], v[38:39], -v[28:29]
	v_add_f64 v[38:39], v[46:47], -v[44:45]
	;; [unrolled: 1-line block ×5, first 2 shown]
	v_add_f64 v[34:35], v[34:35], v[38:39]
	v_add_f64 v[38:39], v[44:45], -v[42:43]
	v_add_f64 v[22:23], v[22:23], -v[38:39]
	;; [unrolled: 1-line block ×5, first 2 shown]
	v_add_f64 v[36:37], v[28:29], v[46:47]
	v_add_f64 v[22:23], v[22:23], v[38:39]
	v_add_f64 v[28:29], v[36:37], -v[28:29]
	v_add_f64 v[22:23], v[22:23], v[34:35]
	v_fma_f64 v[20:21], v[6:7], v[20:21], -v[42:43]
	v_add_f64 v[28:29], v[46:47], -v[28:29]
	v_add_f64 v[20:21], v[20:21], v[22:23]
	v_ldexp_f64 v[22:23], v[40:41], 2
	v_add_f64 v[20:21], v[28:29], v[20:21]
	v_add_f64 v[28:29], v[36:37], v[22:23]
	v_cmp_gt_f64_e32 vcc, 0, v[28:29]
	s_and_b64 s[0:1], vcc, exec
	s_mov_b32 s6, 0
	s_cselect_b32 s7, 0x40100000, 0
	v_add_f64 v[22:23], v[22:23], s[6:7]
	v_add_f64 v[28:29], v[36:37], v[22:23]
	v_cvt_i32_f64_e32 v33, v[28:29]
	v_cvt_f64_i32_e32 v[28:29], v33
	v_add_f64 v[22:23], v[22:23], -v[28:29]
	v_add_f64 v[28:29], v[36:37], v[22:23]
	v_cmp_le_f64_e32 vcc, 0.5, v[28:29]
	v_add_f64 v[22:23], v[28:29], -v[22:23]
	s_and_b64 s[0:1], vcc, exec
	v_add_f64 v[22:23], v[36:37], -v[22:23]
	s_cselect_b32 s7, 0x3ff00000, 0
	v_add_f64 v[20:21], v[20:21], v[22:23]
	v_addc_co_u32_e64 v38, s[0:1], 0, v33, vcc
	v_add_f64 v[22:23], v[28:29], -s[6:7]
	v_add_f64 v[28:29], v[22:23], v[20:21]
	s_mov_b32 s0, 0x54442d18
	v_add_f64 v[22:23], v[28:29], -v[22:23]
	s_mov_b32 s1, 0x3ff921fb
	v_add_f64 v[20:21], v[20:21], -v[22:23]
	v_mul_f64 v[22:23], v[28:29], s[0:1]
	s_mov_b32 s6, 0x33145c07
	v_fma_f64 v[34:35], v[28:29], s[0:1], -v[22:23]
	s_mov_b32 s7, 0x3c91a626
	v_fmac_f64_e32 v[34:35], s[6:7], v[28:29]
	v_fmac_f64_e32 v[34:35], s[0:1], v[20:21]
	v_add_f64 v[20:21], v[22:23], v[34:35]
	v_add_f64 v[22:23], v[20:21], -v[22:23]
	v_add_f64 v[22:23], v[34:35], -v[22:23]
	s_cbranch_execz .LBB1_17
	s_branch .LBB1_18
.LBB1_16:
                                        ; implicit-def: $vgpr38
                                        ; implicit-def: $vgpr20_vgpr21
                                        ; implicit-def: $vgpr22_vgpr23
.LBB1_17:
	s_mov_b32 s0, 0x6dc9c883
	s_mov_b32 s1, 0x3fe45f30
	v_mul_f64 v[20:21], |v[10:11]|, s[0:1]
	s_mov_b32 s0, 0x54442d18
	v_rndne_f64_e32 v[28:29], v[20:21]
	s_mov_b32 s1, 0xbff921fb
	v_fma_f64 v[20:21], v[28:29], s[0:1], |v[10:11]|
	s_mov_b32 s1, 0xbc91a626
	s_mov_b32 s0, 0x33145c00
	v_mul_f64 v[34:35], v[28:29], s[0:1]
	v_add_f64 v[38:39], v[20:21], v[34:35]
	v_fma_f64 v[22:23], s[0:1], v[28:29], v[20:21]
	s_mov_b32 s1, 0x3c91a626
	v_add_f64 v[20:21], v[20:21], -v[38:39]
	v_fma_f64 v[36:37], s[0:1], v[28:29], v[34:35]
	v_add_f64 v[20:21], v[20:21], v[34:35]
	v_add_f64 v[34:35], v[38:39], -v[22:23]
	v_add_f64 v[20:21], v[34:35], v[20:21]
	s_mov_b32 s0, 0x252049c0
	v_add_f64 v[34:35], v[20:21], -v[36:37]
	s_mov_b32 s1, 0xb97b839a
	v_fmac_f64_e32 v[34:35], s[0:1], v[28:29]
	v_add_f64 v[20:21], v[22:23], v[34:35]
	v_add_f64 v[22:23], v[20:21], -v[22:23]
	v_add_f64 v[22:23], v[34:35], -v[22:23]
	v_cvt_i32_f64_e32 v38, v[28:29]
.LBB1_18:
	v_mul_f64 v[34:35], v[24:25], v[24:25]
	v_mul_f64 v[28:29], v[34:35], -0.5
	v_add_f64 v[36:37], v[28:29], 1.0
	s_mov_b32 s0, 0x9037ab78
	v_add_f64 v[40:41], -v[36:37], 1.0
	s_mov_b32 s1, 0x3e21eeb6
	s_mov_b32 s2, 0x46cc5e42
	v_add_f64 v[40:41], v[40:41], v[28:29]
	s_mov_b32 s3, 0xbda907db
	v_pk_mov_b32 v[28:29], s[0:1], s[0:1] op_sel:[0,1]
	s_mov_b32 s6, 0xa17f65f6
	v_fma_f64 v[44:45], s[2:3], v[34:35], v[28:29]
	s_mov_b32 s7, 0xbe927e4f
	s_mov_b32 s8, 0x19f4ec90
	v_fma_f64 v[44:45], v[34:35], v[44:45], s[6:7]
	s_mov_b32 s9, 0x3efa01a0
	;; [unrolled: 3-line block ×4, first 2 shown]
	v_mul_f64 v[42:43], v[34:35], v[34:35]
	v_fma_f64 v[44:45], v[34:35], v[44:45], s[20:21]
	v_fma_f64 v[40:41], v[24:25], -v[26:27], v[40:41]
	s_mov_b32 s0, 0xb42fdfa7
	v_fmac_f64_e32 v[40:41], v[42:43], v[44:45]
	s_mov_b32 s1, 0xbe5ae600
	s_mov_b32 s22, 0xf9a43bb8
	v_add_f64 v[40:41], v[36:37], v[40:41]
	s_mov_b32 s23, 0x3de5e0b2
	v_pk_mov_b32 v[36:37], s[0:1], s[0:1] op_sel:[0,1]
	s_mov_b32 s24, 0x796cde01
	v_fma_f64 v[42:43], s[22:23], v[34:35], v[36:37]
	s_mov_b32 s25, 0x3ec71de3
	s_mov_b32 s26, 0x19e83e5c
	v_fma_f64 v[42:43], v[34:35], v[42:43], s[24:25]
	s_mov_b32 s27, 0xbf2a01a0
	;; [unrolled: 3-line block ×3, first 2 shown]
	v_fma_f64 v[42:43], v[34:35], v[42:43], s[28:29]
	v_mul_f64 v[44:45], v[24:25], -v[34:35]
	v_mul_f64 v[46:47], v[26:27], 0.5
	v_fmac_f64_e32 v[46:47], v[44:45], v[42:43]
	v_fma_f64 v[26:27], v[34:35], v[46:47], -v[26:27]
	s_mov_b32 s31, 0xbfc55555
	s_mov_b32 s30, s20
	v_fmac_f64_e32 v[26:27], s[30:31], v[44:45]
	v_add_f64 v[24:25], v[24:25], -v[26:27]
	v_and_b32_e32 v26, 1, v32
	v_xor_b32_e32 v25, 0x80000000, v25
	v_cmp_eq_u32_e32 vcc, 0, v26
	v_cndmask_b32_e32 v34, v24, v40, vcc
	v_cndmask_b32_e32 v24, v25, v41, vcc
	v_lshlrev_b32_e32 v25, 30, v32
	v_and_b32_e32 v25, 0x80000000, v25
	v_xor_b32_e32 v35, v24, v25
	v_mov_b32_e32 v24, 0
	v_mov_b32_e32 v25, 0x412e8480
	s_mov_b32 s18, 0
	v_fmac_f64_e64 v[24:25], s[12:13], s[12:13]
	s_brev_b32 s19, 8
	v_cmp_gt_f64_e32 vcc, s[18:19], v[24:25]
	v_cndmask_b32_e64 v26, 0, 1, vcc
	v_lshlrev_b32_e32 v26, 8, v26
	v_ldexp_f64 v[26:27], v[24:25], v26
	v_rsq_f64_e32 v[32:33], v[26:27]
	s_movk_i32 s33, 0x1f8
	v_cmp_class_f64_e64 s[0:1], v[10:11], s33
	v_mov_b32_e32 v39, 0x7ff80000
	v_cndmask_b32_e64 v24, 0, v34, s[0:1]
	v_cndmask_b32_e64 v25, v39, v35, s[0:1]
	v_mul_f64 v[34:35], v[26:27], v[32:33]
	v_mul_f64 v[32:33], v[32:33], 0.5
	v_fma_f64 v[40:41], -v[32:33], v[34:35], 0.5
	v_fmac_f64_e32 v[34:35], v[34:35], v[40:41]
	v_fma_f64 v[42:43], -v[34:35], v[34:35], v[26:27]
	v_fmac_f64_e32 v[32:33], v[32:33], v[40:41]
	v_fmac_f64_e32 v[34:35], v[42:43], v[32:33]
	v_fma_f64 v[40:41], -v[34:35], v[34:35], v[26:27]
	s_and_b64 s[34:35], vcc, exec
	v_fmac_f64_e32 v[34:35], v[40:41], v[32:33]
	s_cselect_b32 s33, 0xffffff80, 0
	v_mov_b32_e32 v48, 0x260
	v_ldexp_f64 v[32:33], v[34:35], s33
	v_cmp_class_f64_e32 vcc, v[26:27], v48
	v_cndmask_b32_e32 v27, v33, v27, vcc
	v_cndmask_b32_e32 v26, v32, v26, vcc
	v_mul_f64 v[32:33], v[4:5], v[4:5]
	v_mul_f64 v[34:35], v[32:33], -0.5
	v_fma_f64 v[44:45], s[2:3], v[32:33], v[28:29]
	v_add_f64 v[40:41], v[34:35], 1.0
	v_fma_f64 v[44:45], v[32:33], v[44:45], s[6:7]
	v_add_f64 v[42:43], -v[40:41], 1.0
	v_fma_f64 v[44:45], v[32:33], v[44:45], s[8:9]
	v_add_f64 v[34:35], v[42:43], v[34:35]
	v_fma_f64 v[44:45], v[32:33], v[44:45], s[14:15]
	v_mul_f64 v[42:43], v[32:33], v[32:33]
	v_fma_f64 v[44:45], v[32:33], v[44:45], s[20:21]
	v_fma_f64 v[34:35], v[4:5], -v[14:15], v[34:35]
	v_fmac_f64_e32 v[34:35], v[42:43], v[44:45]
	v_add_f64 v[34:35], v[40:41], v[34:35]
	v_fma_f64 v[40:41], s[22:23], v[32:33], v[36:37]
	v_fma_f64 v[40:41], v[32:33], v[40:41], s[24:25]
	;; [unrolled: 1-line block ×4, first 2 shown]
	v_mul_f64 v[42:43], v[4:5], -v[32:33]
	v_mul_f64 v[44:45], v[14:15], 0.5
	v_fmac_f64_e32 v[44:45], v[42:43], v[40:41]
	v_fma_f64 v[14:15], v[32:33], v[44:45], -v[14:15]
	v_fmac_f64_e32 v[14:15], s[30:31], v[42:43]
	v_add_f64 v[4:5], v[4:5], -v[14:15]
	v_and_b32_e32 v14, 1, v30
	v_cmp_eq_u32_e32 vcc, 0, v14
	v_cndmask_b32_e32 v34, v34, v4, vcc
	v_lshlrev_b32_e32 v4, 30, v30
	v_readlane_b32 s34, v127, 0
	v_xor_b32_e32 v4, v4, v11
	v_readlane_b32 s35, v127, 1
	v_and_b32_e32 v30, 0x80000000, v4
	v_cvt_i32_f64_e32 v4, s[34:35]
	v_cndmask_b32_e32 v35, v35, v5, vcc
	v_cvt_f64_i32_e32 v[4:5], v4
	s_mov_b32 s34, 0
	v_add_f64 v[4:5], v[4:5], 1.0
	s_mov_b32 s35, 0x40340000
	v_div_scale_f64 v[14:15], s[36:37], v[4:5], v[4:5], s[34:35]
	v_rcp_f64_e32 v[32:33], v[14:15]
	v_xor_b32_e32 v30, v35, v30
	v_cndmask_b32_e64 v40, 0, v34, s[0:1]
	v_add_f64 v[0:1], v[0:1], 1.0
	v_fma_f64 v[34:35], -v[14:15], v[32:33], 1.0
	v_fmac_f64_e32 v[32:33], v[32:33], v[34:35]
	v_fma_f64 v[34:35], -v[14:15], v[32:33], 1.0
	v_fmac_f64_e32 v[32:33], v[32:33], v[34:35]
	v_div_scale_f64 v[34:35], vcc, s[34:35], v[4:5], s[34:35]
	v_mul_f64 v[42:43], v[34:35], v[32:33]
	v_fma_f64 v[14:15], -v[14:15], v[42:43], v[34:35]
	v_mov_b32_e32 v34, 0
	s_nop 0
	v_div_fmas_f64 v[14:15], v[14:15], v[32:33], v[42:43]
	v_div_fixup_f64 v[4:5], v[14:15], v[4:5], s[34:35]
	v_mov_b32_e32 v35, 0xc0240000
	v_fma_f64 v[32:33], v[4:5], v[0:1], v[34:35]
	v_mul_f64 v[0:1], v[16:17], v[16:17]
	v_mul_f64 v[14:15], v[0:1], -0.5
	v_fma_f64 v[46:47], s[2:3], v[0:1], v[28:29]
	v_add_f64 v[42:43], v[14:15], 1.0
	v_fma_f64 v[46:47], v[0:1], v[46:47], s[6:7]
	v_add_f64 v[44:45], -v[42:43], 1.0
	v_fma_f64 v[46:47], v[0:1], v[46:47], s[8:9]
	v_add_f64 v[14:15], v[44:45], v[14:15]
	v_fma_f64 v[46:47], v[0:1], v[46:47], s[14:15]
	v_mul_f64 v[44:45], v[0:1], v[0:1]
	v_fma_f64 v[46:47], v[0:1], v[46:47], s[20:21]
	v_fma_f64 v[14:15], v[16:17], -v[18:19], v[14:15]
	v_fmac_f64_e32 v[14:15], v[44:45], v[46:47]
	v_add_f64 v[14:15], v[42:43], v[14:15]
	v_fma_f64 v[42:43], s[22:23], v[0:1], v[36:37]
	v_fma_f64 v[42:43], v[0:1], v[42:43], s[24:25]
	;; [unrolled: 1-line block ×4, first 2 shown]
	v_mul_f64 v[44:45], v[16:17], -v[0:1]
	v_mul_f64 v[46:47], v[18:19], 0.5
	v_fmac_f64_e32 v[46:47], v[44:45], v[42:43]
	v_fma_f64 v[0:1], v[0:1], v[46:47], -v[18:19]
	v_fmac_f64_e32 v[0:1], s[30:31], v[44:45]
	v_add_f64 v[0:1], v[16:17], -v[0:1]
	v_and_b32_e32 v16, 1, v31
	v_cmp_eq_u32_e32 vcc, 0, v16
	v_xor_b32_e32 v1, 0x80000000, v1
	v_cndmask_b32_e32 v0, v0, v14, vcc
	v_lshlrev_b32_e32 v14, 30, v31
	v_cndmask_b32_e32 v1, v1, v15, vcc
	v_and_b32_e32 v14, 0x80000000, v14
	v_xor_b32_e32 v1, v1, v14
	v_cndmask_b32_e64 v0, 0, v0, s[0:1]
	v_cndmask_b32_e64 v1, v39, v1, s[0:1]
	;; [unrolled: 1-line block ×3, first 2 shown]
	v_mul_f64 v[0:1], v[32:33], v[0:1]
	v_fma_f64 v[30:31], v[26:27], v[40:41], -v[0:1]
	v_add_f64 v[0:1], v[2:3], 1.0
	v_fmac_f64_e32 v[34:35], v[4:5], v[0:1]
	v_mul_f64 v[0:1], v[20:21], v[20:21]
	v_mul_f64 v[2:3], v[0:1], -0.5
	v_fmac_f64_e32 v[28:29], s[2:3], v[0:1]
	v_add_f64 v[4:5], v[2:3], 1.0
	v_fma_f64 v[16:17], v[0:1], v[28:29], s[6:7]
	v_add_f64 v[14:15], -v[4:5], 1.0
	v_fma_f64 v[16:17], v[0:1], v[16:17], s[8:9]
	v_add_f64 v[2:3], v[14:15], v[2:3]
	v_fma_f64 v[16:17], v[0:1], v[16:17], s[14:15]
	v_mul_f64 v[14:15], v[0:1], v[0:1]
	v_fma_f64 v[16:17], v[0:1], v[16:17], s[20:21]
	v_fma_f64 v[2:3], v[20:21], -v[22:23], v[2:3]
	v_fmac_f64_e32 v[2:3], v[14:15], v[16:17]
	v_fmac_f64_e32 v[36:37], s[22:23], v[0:1]
	v_add_f64 v[2:3], v[4:5], v[2:3]
	v_fma_f64 v[4:5], v[0:1], v[36:37], s[24:25]
	v_fma_f64 v[4:5], v[0:1], v[4:5], s[26:27]
	;; [unrolled: 1-line block ×3, first 2 shown]
	v_mul_f64 v[14:15], v[20:21], -v[0:1]
	v_mul_f64 v[16:17], v[22:23], 0.5
	v_fmac_f64_e32 v[16:17], v[14:15], v[4:5]
	v_fma_f64 v[0:1], v[0:1], v[16:17], -v[22:23]
	v_fmac_f64_e32 v[0:1], s[30:31], v[14:15]
	v_add_f64 v[14:15], s[12:13], s[12:13]
	buffer_store_dword v14, off, s[96:99], 0 offset:368 ; 4-byte Folded Spill
	s_nop 0
	buffer_store_dword v15, off, s[96:99], 0 offset:372 ; 4-byte Folded Spill
	v_and_b32_e32 v4, 1, v38
	v_add_f64 v[0:1], v[20:21], -v[0:1]
	v_cmp_eq_u32_e32 vcc, 0, v4
	v_cndmask_b32_e32 v0, v2, v0, vcc
	v_lshlrev_b32_e32 v2, 30, v38
	v_xor_b32_e32 v2, v2, v11
	v_cndmask_b32_e32 v1, v3, v1, vcc
	v_and_b32_e32 v2, 0x80000000, v2
	v_xor_b32_e32 v1, v1, v2
	v_cndmask_b32_e64 v0, 0, v0, s[0:1]
	v_cndmask_b32_e64 v1, v39, v1, s[0:1]
	v_mul_f64 v[0:1], v[32:33], v[0:1]
	v_mul_f64 v[2:3], v[30:31], v[30:31]
	v_fmac_f64_e32 v[0:1], 0x408f4000, v[24:25]
	v_fmac_f64_e32 v[2:3], v[34:35], v[34:35]
	v_fmac_f64_e32 v[2:3], v[0:1], v[0:1]
	v_fma_f64 v[2:3], -s[12:13], s[12:13], v[2:3]
	v_mul_f64 v[4:5], v[2:3], v[2:3]
	s_mov_b32 s7, 0x3fedd9ad
	s_mov_b32 s6, 0x336a0500
	v_mul_f64 v[14:15], v[14:15], v[0:1]
	v_fmac_f64_e32 v[4:5], v[14:15], v[14:15]
	v_cmp_gt_f64_e32 vcc, s[18:19], v[4:5]
	v_cndmask_b32_e64 v14, 0, 1, vcc
	v_lshlrev_b32_e32 v14, 8, v14
	v_ldexp_f64 v[4:5], v[4:5], v14
	v_rsq_f64_e32 v[14:15], v[4:5]
	v_mul_f64 v[16:17], v[4:5], v[14:15]
	v_mul_f64 v[14:15], v[14:15], 0.5
	v_fma_f64 v[18:19], -v[14:15], v[16:17], 0.5
	v_fmac_f64_e32 v[16:17], v[16:17], v[18:19]
	v_fma_f64 v[20:21], -v[16:17], v[16:17], v[4:5]
	v_fmac_f64_e32 v[14:15], v[14:15], v[18:19]
	v_fmac_f64_e32 v[16:17], v[20:21], v[14:15]
	v_fma_f64 v[18:19], -v[16:17], v[16:17], v[4:5]
	v_mov_b32_e32 v20, 0xffffff80
	v_fmac_f64_e32 v[16:17], v[18:19], v[14:15]
	v_cndmask_b32_e32 v14, 0, v20, vcc
	v_ldexp_f64 v[14:15], v[16:17], v14
	v_cmp_class_f64_e32 vcc, v[4:5], v48
	v_cndmask_b32_e32 v5, v15, v5, vcc
	v_cndmask_b32_e32 v4, v14, v4, vcc
	v_add_f64 v[2:3], v[2:3], v[4:5]
	v_mul_f64 v[2:3], v[2:3], 0.5
	v_cmp_gt_f64_e32 vcc, s[18:19], v[2:3]
	v_cndmask_b32_e64 v4, 0, 1, vcc
	v_lshlrev_b32_e32 v4, 8, v4
	v_ldexp_f64 v[2:3], v[2:3], v4
	v_rsq_f64_e32 v[4:5], v[2:3]
	v_mul_f64 v[14:15], v[2:3], v[4:5]
	v_mul_f64 v[4:5], v[4:5], 0.5
	v_fma_f64 v[16:17], -v[4:5], v[14:15], 0.5
	v_fmac_f64_e32 v[14:15], v[14:15], v[16:17]
	v_fma_f64 v[18:19], -v[14:15], v[14:15], v[2:3]
	v_fmac_f64_e32 v[4:5], v[4:5], v[16:17]
	v_fmac_f64_e32 v[14:15], v[18:19], v[4:5]
	v_fma_f64 v[16:17], -v[14:15], v[14:15], v[2:3]
	v_fmac_f64_e32 v[14:15], v[16:17], v[4:5]
	v_cndmask_b32_e32 v4, 0, v20, vcc
	v_ldexp_f64 v[4:5], v[14:15], v4
	v_cmp_class_f64_e32 vcc, v[2:3], v48
	v_cndmask_b32_e32 v119, v5, v3, vcc
	v_cndmask_b32_e32 v118, v4, v2, vcc
	v_div_scale_f64 v[4:5], s[2:3], v[118:119], v[118:119], v[0:1]
	v_rcp_f64_e32 v[14:15], v[4:5]
	s_mov_b32 s2, 0x9fea6a70
	s_mov_b32 s3, 0x3fa05985
	v_fma_f64 v[16:17], -v[4:5], v[14:15], 1.0
	v_fmac_f64_e32 v[14:15], v[14:15], v[16:17]
	v_fma_f64 v[16:17], -v[4:5], v[14:15], 1.0
	v_fmac_f64_e32 v[14:15], v[14:15], v[16:17]
	v_div_scale_f64 v[16:17], vcc, v[0:1], v[118:119], v[0:1]
	v_mul_f64 v[18:19], v[16:17], v[14:15]
	v_fma_f64 v[4:5], -v[4:5], v[18:19], v[16:17]
	v_mov_b32_e32 v16, 0x78a05eaf
	s_nop 0
	v_div_fmas_f64 v[4:5], v[4:5], v[14:15], v[18:19]
	v_div_fixup_f64 v[0:1], v[4:5], v[118:119], v[0:1]
	v_fma_f64 v[14:15], |v[0:1]|, -0.5, 0.5
	v_mul_f64 v[4:5], v[0:1], v[0:1]
	v_cmp_ge_f64_e64 vcc, |v[0:1]|, 0.5
	v_cndmask_b32_e32 v5, v5, v15, vcc
	v_cndmask_b32_e32 v4, v4, v14, vcc
	v_mov_b32_e32 v17, 0xbf90a5a3
	v_fmac_f64_e32 v[16:17], s[2:3], v[4:5]
	v_mov_b32_e32 v18, 0x37024d6a
	v_mov_b32_e32 v19, 0x3f940521
	v_fmac_f64_e32 v[18:19], v[4:5], v[16:17]
	v_mov_b32_e32 v16, 0x98a70509
	;; [unrolled: 3-line block ×10, first 2 shown]
	v_mov_b32_e32 v17, 0x3fc55555
	v_fmac_f64_e32 v[16:17], v[4:5], v[18:19]
	v_mul_f64 v[16:17], v[4:5], v[16:17]
	v_fma_f64 v[4:5], v[0:1], v[16:17], v[0:1]
	v_mov_b32_e32 v18, 0xeeb562d6
	v_mov_b32_e32 v19, 0x3ffaf154
	v_fma_f64 v[100:101], s[6:7], v[18:19], -v[4:5]
	s_and_saveexec_b64 s[2:3], vcc
	s_cbranch_execz .LBB1_20
; %bb.19:
	v_rsq_f64_e32 v[4:5], v[14:15]
	v_cmp_eq_f64_e32 vcc, 0, v[14:15]
	s_mov_b32 s7, 0x3ffdd9ad
	v_mul_f64 v[20:21], v[14:15], v[4:5]
	v_mul_f64 v[4:5], v[4:5], 0.5
	v_fma_f64 v[22:23], -v[4:5], v[20:21], 0.5
	v_fmac_f64_e32 v[20:21], v[20:21], v[22:23]
	v_fmac_f64_e32 v[4:5], v[4:5], v[22:23]
	v_fma_f64 v[22:23], -v[20:21], v[20:21], v[14:15]
	v_fmac_f64_e32 v[20:21], v[22:23], v[4:5]
	v_cndmask_b32_e32 v5, v21, v15, vcc
	v_cndmask_b32_e32 v4, v20, v14, vcc
	v_add_f64 v[26:27], v[4:5], v[4:5]
	v_rcp_f64_e32 v[28:29], v[26:27]
	v_mul_f64 v[20:21], v[4:5], v[4:5]
	v_add_f64 v[24:25], v[14:15], -v[20:21]
	v_add_f64 v[14:15], v[14:15], -v[24:25]
	v_fma_f64 v[22:23], v[4:5], v[4:5], -v[20:21]
	v_add_f64 v[14:15], v[14:15], -v[20:21]
	v_fma_f64 v[20:21], -v[26:27], v[28:29], 1.0
	v_fmac_f64_e32 v[28:29], v[20:21], v[28:29]
	v_add_f64 v[14:15], v[14:15], -v[22:23]
	v_fma_f64 v[20:21], -v[26:27], v[28:29], 1.0
	v_add_f64 v[14:15], v[24:25], v[14:15]
	v_fmac_f64_e32 v[28:29], v[20:21], v[28:29]
	v_mul_f64 v[20:21], v[14:15], v[28:29]
	v_fma_f64 v[14:15], -v[26:27], v[20:21], v[14:15]
	v_fmac_f64_e32 v[20:21], v[14:15], v[28:29]
	v_cndmask_b32_e64 v15, v21, 0, vcc
	v_cndmask_b32_e64 v14, v20, 0, vcc
	v_add_f64 v[20:21], v[4:5], v[14:15]
	v_add_f64 v[4:5], v[20:21], -v[4:5]
	v_add_f64 v[4:5], v[14:15], -v[4:5]
	v_fma_f64 v[14:15], v[20:21], v[16:17], v[20:21]
	v_fmac_f64_e32 v[4:5], v[20:21], v[16:17]
	v_mul_f64 v[14:15], v[14:15], -2.0
	v_add_f64 v[4:5], v[20:21], v[4:5]
	v_fmac_f64_e32 v[14:15], s[6:7], v[18:19]
	v_add_f64 v[4:5], v[4:5], v[4:5]
	v_cmp_gt_f64_e32 vcc, 0, v[0:1]
	v_cndmask_b32_e32 v2, v5, v15, vcc
	v_cndmask_b32_e32 v3, v4, v14, vcc
	v_mov_b32_e32 v4, 0x54442d18
	v_cmp_neq_f64_e32 vcc, -1.0, v[0:1]
	v_cndmask_b32_e32 v3, v4, v3, vcc
	v_mov_b32_e32 v4, 0x400921fb
	v_cndmask_b32_e32 v2, v4, v2, vcc
	v_cmp_neq_f64_e32 vcc, 1.0, v[0:1]
	v_cndmask_b32_e32 v101, 0, v2, vcc
	v_cndmask_b32_e32 v100, 0, v3, vcc
.LBB1_20:
	s_or_b64 exec, exec, s[2:3]
	s_mov_b32 s2, 0
	s_mov_b32 s3, 0x41d00000
	v_cmp_nlt_f64_e64 s[14:15], |v[100:101]|, s[2:3]
	v_trig_preop_f64 v[24:25], |v[100:101]|, 0
	v_trig_preop_f64 v[22:23], |v[100:101]|, 1
	;; [unrolled: 1-line block ×3, first 2 shown]
                                        ; implicit-def: $vgpr80
                                        ; implicit-def: $vgpr0_vgpr1
                                        ; implicit-def: $vgpr14_vgpr15
	s_and_saveexec_b64 s[2:3], s[14:15]
	s_xor_b64 s[6:7], exec, s[2:3]
	s_cbranch_execz .LBB1_22
; %bb.21:
	s_mov_b32 s2, 0
	s_mov_b32 s3, 0x7b000000
	s_movk_i32 s8, 0xff80
	v_and_b32_e32 v2, 0x7fffffff, v101
	v_ldexp_f64 v[0:1], |v[100:101]|, s8
	v_cmp_ge_f64_e64 vcc, |v[100:101]|, s[2:3]
	v_cndmask_b32_e32 v1, v2, v1, vcc
	v_cndmask_b32_e32 v0, v100, v0, vcc
	v_mul_f64 v[16:17], v[24:25], v[0:1]
	v_mul_f64 v[14:15], v[22:23], v[0:1]
	v_fma_f64 v[18:19], v[24:25], v[0:1], -v[16:17]
	v_add_f64 v[26:27], v[14:15], v[18:19]
	v_add_f64 v[28:29], v[16:17], v[26:27]
	s_mov_b32 s2, 0
	v_ldexp_f64 v[36:37], v[28:29], -2
	s_mov_b32 s3, 0x7ff00000
	v_fract_f64_e32 v[38:39], v[36:37]
	v_cmp_neq_f64_e64 vcc, |v[36:37]|, s[2:3]
	v_cndmask_b32_e32 v37, 0, v39, vcc
	v_cndmask_b32_e32 v36, 0, v38, vcc
	v_add_f64 v[38:39], v[26:27], -v[14:15]
	v_add_f64 v[18:19], v[18:19], -v[38:39]
	;; [unrolled: 1-line block ×4, first 2 shown]
	v_add_f64 v[18:19], v[18:19], v[38:39]
	v_fma_f64 v[14:15], v[22:23], v[0:1], -v[14:15]
	v_mul_f64 v[38:39], v[20:21], v[0:1]
	v_add_f64 v[42:43], v[38:39], v[14:15]
	v_add_f64 v[44:45], v[42:43], v[18:19]
	v_add_f64 v[16:17], v[28:29], -v[16:17]
	v_add_f64 v[28:29], v[44:45], -v[42:43]
	v_add_f64 v[18:19], v[18:19], -v[28:29]
	v_add_f64 v[28:29], v[44:45], -v[28:29]
	v_add_f64 v[28:29], v[42:43], -v[28:29]
	v_add_f64 v[18:19], v[18:19], v[28:29]
	v_add_f64 v[28:29], v[42:43], -v[38:39]
	v_add_f64 v[14:15], v[14:15], -v[28:29]
	;; [unrolled: 1-line block ×5, first 2 shown]
	v_add_f64 v[26:27], v[16:17], v[44:45]
	v_add_f64 v[14:15], v[14:15], v[28:29]
	v_add_f64 v[16:17], v[26:27], -v[16:17]
	v_add_f64 v[14:15], v[14:15], v[18:19]
	v_fma_f64 v[0:1], v[20:21], v[0:1], -v[38:39]
	v_add_f64 v[16:17], v[44:45], -v[16:17]
	v_add_f64 v[0:1], v[0:1], v[14:15]
	v_ldexp_f64 v[14:15], v[36:37], 2
	v_add_f64 v[0:1], v[16:17], v[0:1]
	v_add_f64 v[16:17], v[26:27], v[14:15]
	v_mov_b32_e32 v2, 0x40100000
	v_cmp_gt_f64_e32 vcc, 0, v[16:17]
	v_mov_b32_e32 v40, 0
	v_cndmask_b32_e32 v41, 0, v2, vcc
	v_add_f64 v[14:15], v[14:15], v[40:41]
	v_add_f64 v[16:17], v[26:27], v[14:15]
	v_cvt_i32_f64_e32 v2, v[16:17]
	v_cvt_f64_i32_e32 v[16:17], v2
	v_add_f64 v[14:15], v[14:15], -v[16:17]
	v_add_f64 v[16:17], v[26:27], v[14:15]
	v_cmp_le_f64_e32 vcc, 0.5, v[16:17]
	v_add_f64 v[14:15], v[16:17], -v[14:15]
	v_addc_co_u32_e64 v80, s[2:3], 0, v2, vcc
	v_mov_b32_e32 v2, 0x3ff00000
	v_add_f64 v[14:15], v[26:27], -v[14:15]
	v_cndmask_b32_e32 v41, 0, v2, vcc
	v_add_f64 v[0:1], v[0:1], v[14:15]
	v_add_f64 v[14:15], v[16:17], -v[40:41]
	v_add_f64 v[16:17], v[14:15], v[0:1]
	s_mov_b32 s2, 0x54442d18
	v_add_f64 v[14:15], v[16:17], -v[14:15]
	s_mov_b32 s3, 0x3ff921fb
	v_add_f64 v[0:1], v[0:1], -v[14:15]
	v_mul_f64 v[14:15], v[16:17], s[2:3]
	s_mov_b32 s8, 0x33145c07
	v_fma_f64 v[18:19], v[16:17], s[2:3], -v[14:15]
	s_mov_b32 s9, 0x3c91a626
	v_fmac_f64_e32 v[18:19], s[8:9], v[16:17]
	v_fmac_f64_e32 v[18:19], s[2:3], v[0:1]
	v_add_f64 v[0:1], v[14:15], v[18:19]
	v_add_f64 v[14:15], v[0:1], -v[14:15]
	v_add_f64 v[14:15], v[18:19], -v[14:15]
	s_andn2_saveexec_b64 s[2:3], s[6:7]
	s_cbranch_execz .LBB1_24
	s_branch .LBB1_23
.LBB1_22:
	s_andn2_saveexec_b64 s[2:3], s[6:7]
	s_cbranch_execz .LBB1_24
.LBB1_23:
	s_mov_b32 s6, 0x6dc9c883
	s_mov_b32 s7, 0x3fe45f30
	v_mul_f64 v[0:1], |v[100:101]|, s[6:7]
	s_mov_b32 s6, 0x54442d18
	v_rndne_f64_e32 v[16:17], v[0:1]
	s_mov_b32 s7, 0xbff921fb
	v_fma_f64 v[0:1], v[16:17], s[6:7], |v[100:101]|
	s_mov_b32 s7, 0xbc91a626
	s_mov_b32 s6, 0x33145c00
	v_mul_f64 v[18:19], v[16:17], s[6:7]
	v_add_f64 v[28:29], v[0:1], v[18:19]
	v_fma_f64 v[14:15], s[6:7], v[16:17], v[0:1]
	s_mov_b32 s7, 0x3c91a626
	v_add_f64 v[0:1], v[0:1], -v[28:29]
	v_fma_f64 v[26:27], s[6:7], v[16:17], v[18:19]
	v_add_f64 v[0:1], v[0:1], v[18:19]
	v_add_f64 v[18:19], v[28:29], -v[14:15]
	v_add_f64 v[0:1], v[18:19], v[0:1]
	s_mov_b32 s6, 0x252049c0
	v_add_f64 v[18:19], v[0:1], -v[26:27]
	s_mov_b32 s7, 0xb97b839a
	v_fmac_f64_e32 v[18:19], s[6:7], v[16:17]
	v_add_f64 v[0:1], v[14:15], v[18:19]
	v_add_f64 v[14:15], v[0:1], -v[14:15]
	v_add_f64 v[14:15], v[18:19], -v[14:15]
	v_cvt_i32_f64_e32 v80, v[16:17]
.LBB1_24:
	s_or_b64 exec, exec, s[2:3]
                                        ; implicit-def: $vgpr81
                                        ; implicit-def: $vgpr16_vgpr17
                                        ; implicit-def: $vgpr18_vgpr19
	s_and_saveexec_b64 s[2:3], s[14:15]
	s_xor_b64 s[6:7], exec, s[2:3]
	s_cbranch_execz .LBB1_28
; %bb.25:
	s_mov_b32 s2, 0
	s_mov_b32 s3, 0x7b000000
	s_movk_i32 s8, 0xff80
	v_and_b32_e32 v2, 0x7fffffff, v101
	v_ldexp_f64 v[16:17], |v[100:101]|, s8
	v_cmp_ge_f64_e64 vcc, |v[100:101]|, s[2:3]
	v_cndmask_b32_e32 v17, v2, v17, vcc
	v_cndmask_b32_e32 v16, v100, v16, vcc
	v_mul_f64 v[26:27], v[24:25], v[16:17]
	v_mul_f64 v[18:19], v[22:23], v[16:17]
	v_fma_f64 v[28:29], v[24:25], v[16:17], -v[26:27]
	v_add_f64 v[36:37], v[18:19], v[28:29]
	v_add_f64 v[38:39], v[26:27], v[36:37]
	s_mov_b32 s2, 0
	v_ldexp_f64 v[40:41], v[38:39], -2
	s_mov_b32 s3, 0x7ff00000
	v_fract_f64_e32 v[42:43], v[40:41]
	v_cmp_neq_f64_e64 vcc, |v[40:41]|, s[2:3]
	v_cndmask_b32_e32 v41, 0, v43, vcc
	v_cndmask_b32_e32 v40, 0, v42, vcc
	v_add_f64 v[42:43], v[36:37], -v[18:19]
	v_add_f64 v[28:29], v[28:29], -v[42:43]
	;; [unrolled: 1-line block ×4, first 2 shown]
	v_add_f64 v[28:29], v[28:29], v[42:43]
	v_fma_f64 v[18:19], v[22:23], v[16:17], -v[18:19]
	v_mul_f64 v[42:43], v[20:21], v[16:17]
	v_add_f64 v[46:47], v[42:43], v[18:19]
	v_add_f64 v[48:49], v[46:47], v[28:29]
	v_add_f64 v[26:27], v[38:39], -v[26:27]
	v_add_f64 v[38:39], v[48:49], -v[46:47]
	;; [unrolled: 1-line block ×5, first 2 shown]
	v_add_f64 v[28:29], v[28:29], v[38:39]
	v_add_f64 v[38:39], v[46:47], -v[42:43]
	v_add_f64 v[18:19], v[18:19], -v[38:39]
	;; [unrolled: 1-line block ×5, first 2 shown]
	v_add_f64 v[36:37], v[26:27], v[48:49]
	v_add_f64 v[18:19], v[18:19], v[38:39]
	v_add_f64 v[26:27], v[36:37], -v[26:27]
	v_add_f64 v[18:19], v[18:19], v[28:29]
	v_fma_f64 v[16:17], v[20:21], v[16:17], -v[42:43]
	v_add_f64 v[26:27], v[48:49], -v[26:27]
	v_add_f64 v[16:17], v[16:17], v[18:19]
	v_ldexp_f64 v[18:19], v[40:41], 2
	v_add_f64 v[16:17], v[26:27], v[16:17]
	v_add_f64 v[26:27], v[36:37], v[18:19]
	v_mov_b32_e32 v2, 0x40100000
	v_cmp_gt_f64_e32 vcc, 0, v[26:27]
	v_mov_b32_e32 v44, 0
	v_cndmask_b32_e32 v45, 0, v2, vcc
	v_add_f64 v[18:19], v[18:19], v[44:45]
	v_add_f64 v[26:27], v[36:37], v[18:19]
	v_cvt_i32_f64_e32 v2, v[26:27]
	v_cvt_f64_i32_e32 v[26:27], v2
	v_add_f64 v[18:19], v[18:19], -v[26:27]
	v_add_f64 v[26:27], v[36:37], v[18:19]
	v_cmp_le_f64_e32 vcc, 0.5, v[26:27]
	v_add_f64 v[18:19], v[26:27], -v[18:19]
	v_addc_co_u32_e64 v81, s[2:3], 0, v2, vcc
	v_mov_b32_e32 v2, 0x3ff00000
	v_add_f64 v[18:19], v[36:37], -v[18:19]
	v_cndmask_b32_e32 v45, 0, v2, vcc
	v_add_f64 v[16:17], v[16:17], v[18:19]
	v_add_f64 v[18:19], v[26:27], -v[44:45]
	v_add_f64 v[26:27], v[18:19], v[16:17]
	s_mov_b32 s2, 0x54442d18
	v_add_f64 v[18:19], v[26:27], -v[18:19]
	s_mov_b32 s3, 0x3ff921fb
	v_add_f64 v[16:17], v[16:17], -v[18:19]
	v_mul_f64 v[18:19], v[26:27], s[2:3]
	s_mov_b32 s8, 0x33145c07
	v_fma_f64 v[28:29], v[26:27], s[2:3], -v[18:19]
	s_mov_b32 s9, 0x3c91a626
	v_fmac_f64_e32 v[28:29], s[8:9], v[26:27]
	v_fmac_f64_e32 v[28:29], s[2:3], v[16:17]
	v_add_f64 v[16:17], v[18:19], v[28:29]
	v_add_f64 v[18:19], v[16:17], -v[18:19]
	v_add_f64 v[18:19], v[28:29], -v[18:19]
	s_andn2_saveexec_b64 s[2:3], s[6:7]
	s_cbranch_execnz .LBB1_29
.LBB1_26:
	s_or_b64 exec, exec, s[2:3]
	s_and_b64 vcc, exec, s[10:11]
	s_cbranch_vccz .LBB1_30
.LBB1_27:
	s_mov_b32 s2, 0
	s_mov_b32 s3, 0x7b000000
	s_movk_i32 s6, 0xff80
	v_and_b32_e32 v2, 0x7fffffff, v11
	v_ldexp_f64 v[26:27], |v[10:11]|, s6
	v_cmp_ge_f64_e64 vcc, |v[10:11]|, s[2:3]
	v_cndmask_b32_e32 v27, v2, v27, vcc
	v_cndmask_b32_e32 v26, v10, v26, vcc
	v_mul_f64 v[36:37], v[12:13], v[26:27]
	v_mul_f64 v[28:29], v[8:9], v[26:27]
	v_fma_f64 v[38:39], v[12:13], v[26:27], -v[36:37]
	v_add_f64 v[40:41], v[28:29], v[38:39]
	v_add_f64 v[42:43], v[36:37], v[40:41]
	s_mov_b32 s2, 0
	v_ldexp_f64 v[44:45], v[42:43], -2
	s_mov_b32 s3, 0x7ff00000
	v_fract_f64_e32 v[46:47], v[44:45]
	v_cmp_neq_f64_e64 vcc, |v[44:45]|, s[2:3]
	v_cndmask_b32_e32 v45, 0, v47, vcc
	v_cndmask_b32_e32 v44, 0, v46, vcc
	v_add_f64 v[46:47], v[40:41], -v[28:29]
	v_add_f64 v[38:39], v[38:39], -v[46:47]
	;; [unrolled: 1-line block ×4, first 2 shown]
	v_add_f64 v[38:39], v[38:39], v[46:47]
	v_fma_f64 v[28:29], v[8:9], v[26:27], -v[28:29]
	v_mul_f64 v[46:47], v[6:7], v[26:27]
	v_add_f64 v[48:49], v[46:47], v[28:29]
	v_add_f64 v[50:51], v[48:49], v[38:39]
	v_add_f64 v[36:37], v[42:43], -v[36:37]
	v_add_f64 v[42:43], v[50:51], -v[48:49]
	;; [unrolled: 1-line block ×5, first 2 shown]
	v_add_f64 v[38:39], v[38:39], v[42:43]
	v_add_f64 v[42:43], v[48:49], -v[46:47]
	v_add_f64 v[28:29], v[28:29], -v[42:43]
	v_add_f64 v[42:43], v[48:49], -v[42:43]
	v_add_f64 v[36:37], v[40:41], -v[36:37]
	v_add_f64 v[42:43], v[46:47], -v[42:43]
	v_add_f64 v[40:41], v[36:37], v[50:51]
	v_add_f64 v[28:29], v[28:29], v[42:43]
	v_add_f64 v[36:37], v[40:41], -v[36:37]
	v_add_f64 v[28:29], v[28:29], v[38:39]
	v_fma_f64 v[26:27], v[6:7], v[26:27], -v[46:47]
	v_add_f64 v[36:37], v[50:51], -v[36:37]
	v_add_f64 v[26:27], v[26:27], v[28:29]
	v_ldexp_f64 v[28:29], v[44:45], 2
	v_add_f64 v[26:27], v[36:37], v[26:27]
	v_add_f64 v[36:37], v[40:41], v[28:29]
	v_cmp_gt_f64_e32 vcc, 0, v[36:37]
	s_and_b64 s[2:3], vcc, exec
	s_mov_b32 s8, 0
	s_cselect_b32 s9, 0x40100000, 0
	v_add_f64 v[28:29], v[28:29], s[8:9]
	v_add_f64 v[36:37], v[40:41], v[28:29]
	v_cvt_i32_f64_e32 v2, v[36:37]
	v_cvt_f64_i32_e32 v[36:37], v2
	v_add_f64 v[28:29], v[28:29], -v[36:37]
	v_add_f64 v[36:37], v[40:41], v[28:29]
	v_cmp_le_f64_e32 vcc, 0.5, v[36:37]
	v_add_f64 v[28:29], v[36:37], -v[28:29]
	s_and_b64 s[2:3], vcc, exec
	v_add_f64 v[28:29], v[40:41], -v[28:29]
	s_cselect_b32 s9, 0x3ff00000, 0
	v_add_f64 v[26:27], v[26:27], v[28:29]
	v_addc_co_u32_e64 v82, s[2:3], 0, v2, vcc
	v_add_f64 v[28:29], v[36:37], -s[8:9]
	v_add_f64 v[36:37], v[28:29], v[26:27]
	s_mov_b32 s2, 0x54442d18
	v_add_f64 v[28:29], v[36:37], -v[28:29]
	s_mov_b32 s3, 0x3ff921fb
	v_add_f64 v[26:27], v[26:27], -v[28:29]
	v_mul_f64 v[28:29], v[36:37], s[2:3]
	s_mov_b32 s8, 0x33145c07
	v_fma_f64 v[38:39], v[36:37], s[2:3], -v[28:29]
	s_mov_b32 s9, 0x3c91a626
	v_fmac_f64_e32 v[38:39], s[8:9], v[36:37]
	v_fmac_f64_e32 v[38:39], s[2:3], v[26:27]
	v_add_f64 v[26:27], v[28:29], v[38:39]
	v_add_f64 v[28:29], v[26:27], -v[28:29]
	v_add_f64 v[28:29], v[38:39], -v[28:29]
	s_cbranch_execz .LBB1_31
	s_branch .LBB1_32
.LBB1_28:
	s_andn2_saveexec_b64 s[2:3], s[6:7]
	s_cbranch_execz .LBB1_26
.LBB1_29:
	s_mov_b32 s6, 0x6dc9c883
	s_mov_b32 s7, 0x3fe45f30
	v_mul_f64 v[16:17], |v[100:101]|, s[6:7]
	s_mov_b32 s6, 0x54442d18
	v_rndne_f64_e32 v[26:27], v[16:17]
	s_mov_b32 s7, 0xbff921fb
	v_fma_f64 v[16:17], v[26:27], s[6:7], |v[100:101]|
	s_mov_b32 s7, 0xbc91a626
	s_mov_b32 s6, 0x33145c00
	v_mul_f64 v[28:29], v[26:27], s[6:7]
	v_add_f64 v[38:39], v[16:17], v[28:29]
	v_fma_f64 v[18:19], s[6:7], v[26:27], v[16:17]
	s_mov_b32 s7, 0x3c91a626
	v_add_f64 v[16:17], v[16:17], -v[38:39]
	v_fma_f64 v[36:37], s[6:7], v[26:27], v[28:29]
	v_add_f64 v[16:17], v[16:17], v[28:29]
	v_add_f64 v[28:29], v[38:39], -v[18:19]
	v_add_f64 v[16:17], v[28:29], v[16:17]
	s_mov_b32 s6, 0x252049c0
	v_add_f64 v[28:29], v[16:17], -v[36:37]
	s_mov_b32 s7, 0xb97b839a
	v_fmac_f64_e32 v[28:29], s[6:7], v[26:27]
	v_add_f64 v[16:17], v[18:19], v[28:29]
	v_add_f64 v[18:19], v[16:17], -v[18:19]
	v_add_f64 v[18:19], v[28:29], -v[18:19]
	v_cvt_i32_f64_e32 v81, v[26:27]
	s_or_b64 exec, exec, s[2:3]
	s_and_b64 vcc, exec, s[10:11]
	s_cbranch_vccnz .LBB1_27
.LBB1_30:
                                        ; implicit-def: $vgpr82
                                        ; implicit-def: $vgpr26_vgpr27
                                        ; implicit-def: $vgpr28_vgpr29
.LBB1_31:
	s_mov_b32 s2, 0x6dc9c883
	s_mov_b32 s3, 0x3fe45f30
	v_mul_f64 v[26:27], |v[10:11]|, s[2:3]
	s_mov_b32 s2, 0x54442d18
	v_rndne_f64_e32 v[36:37], v[26:27]
	s_mov_b32 s3, 0xbff921fb
	v_fma_f64 v[26:27], v[36:37], s[2:3], |v[10:11]|
	s_mov_b32 s3, 0xbc91a626
	s_mov_b32 s2, 0x33145c00
	v_mul_f64 v[38:39], v[36:37], s[2:3]
	v_add_f64 v[42:43], v[26:27], v[38:39]
	v_fma_f64 v[28:29], s[2:3], v[36:37], v[26:27]
	s_mov_b32 s3, 0x3c91a626
	v_add_f64 v[26:27], v[26:27], -v[42:43]
	v_fma_f64 v[40:41], s[2:3], v[36:37], v[38:39]
	v_add_f64 v[26:27], v[26:27], v[38:39]
	v_add_f64 v[38:39], v[42:43], -v[28:29]
	v_add_f64 v[26:27], v[38:39], v[26:27]
	s_mov_b32 s2, 0x252049c0
	v_add_f64 v[38:39], v[26:27], -v[40:41]
	s_mov_b32 s3, 0xb97b839a
	v_fmac_f64_e32 v[38:39], s[2:3], v[36:37]
	v_add_f64 v[26:27], v[28:29], v[38:39]
	v_add_f64 v[28:29], v[26:27], -v[28:29]
	v_add_f64 v[28:29], v[38:39], -v[28:29]
	v_cvt_i32_f64_e32 v82, v[36:37]
.LBB1_32:
	v_max_f64 v[36:37], |v[34:35]|, |v[34:35]|
	v_max_f64 v[38:39], |v[30:31]|, |v[30:31]|
	v_max_f64 v[40:41], v[38:39], v[36:37]
	v_min_f64 v[36:37], v[38:39], v[36:37]
	v_div_scale_f64 v[38:39], s[2:3], v[40:41], v[40:41], v[36:37]
	v_rcp_f64_e32 v[42:43], v[38:39]
	s_mov_b32 s2, 0xb5e68a13
	s_mov_b32 s3, 0x3eeba404
	v_mov_b32_e32 v2, 0x54442d18
	v_fma_f64 v[44:45], -v[38:39], v[42:43], 1.0
	v_fmac_f64_e32 v[42:43], v[42:43], v[44:45]
	v_fma_f64 v[44:45], -v[38:39], v[42:43], 1.0
	v_fmac_f64_e32 v[42:43], v[42:43], v[44:45]
	v_div_scale_f64 v[44:45], vcc, v[36:37], v[40:41], v[36:37]
	v_mul_f64 v[46:47], v[44:45], v[42:43]
	v_fma_f64 v[38:39], -v[38:39], v[46:47], v[44:45]
	v_mov_b32_e32 v3, 0x7f3321d2
	s_nop 0
	v_div_fmas_f64 v[38:39], v[38:39], v[42:43], v[46:47]
	v_div_fixup_f64 v[36:37], v[38:39], v[40:41], v[36:37]
	v_mul_f64 v[38:39], v[36:37], v[36:37]
	v_mov_b32_e32 v40, 0xbd3237f4
	v_mov_b32_e32 v41, 0xbf23e260
	v_fmac_f64_e32 v[40:41], s[2:3], v[38:39]
	v_mov_b32_e32 v42, 0x69efb384
	v_mov_b32_e32 v43, 0x3f4b2bb0
	v_fmac_f64_e32 v[42:43], v[38:39], v[40:41]
	;; [unrolled: 3-line block ×19, first 2 shown]
	v_cmp_gt_i32_e32 vcc, 0, v31
	v_mul_f64 v[38:39], v[38:39], v[40:41]
	s_movk_i32 s2, 0x204
	s_mov_b32 s18, 0x54442d18
	v_cndmask_b32_e32 v2, v2, v3, vcc
	v_mov_b32_e32 v3, 0x3fe921fb
	v_mov_b32_e32 v4, 0x4002d97c
	v_fmac_f64_e32 v[36:37], v[36:37], v[38:39]
	v_cmp_class_f64_e64 s[6:7], v[34:35], s2
	v_cmp_class_f64_e64 s[8:9], v[30:31], s2
	s_mov_b32 s19, 0x3ff921fb
	v_cndmask_b32_e32 v3, v3, v4, vcc
	s_brev_b32 s2, -2
	v_bfi_b32 v3, s2, v3, v35
	v_add_f64 v[38:39], -v[36:37], s[18:19]
	v_cmp_lt_f64_e64 s[2:3], |v[30:31]|, |v[34:35]|
	s_mov_b32 s21, 0x400921fb
	v_cndmask_b32_e64 v37, v37, v39, s[2:3]
	v_cndmask_b32_e64 v36, v36, v38, s[2:3]
	s_mov_b32 s20, s18
	v_ashrrev_i32_e32 v4, 31, v31
	v_add_f64 v[38:39], -v[36:37], s[20:21]
	v_and_b32_e32 v5, 0x400921fb, v4
	v_and_b32_e32 v4, 0x54442d18, v4
	v_cndmask_b32_e32 v37, v37, v39, vcc
	v_cndmask_b32_e32 v36, v36, v38, vcc
	v_cmp_eq_f64_e32 vcc, 0, v[34:35]
	v_cndmask_b32_e32 v4, v36, v4, vcc
	v_cndmask_b32_e32 v5, v37, v5, vcc
	s_and_b64 vcc, s[6:7], s[8:9]
	v_cndmask_b32_e32 v39, v5, v3, vcc
	v_cndmask_b32_e32 v38, v4, v2, vcc
	v_and_b32_e32 v2, 0x7fffffff, v39
	v_mov_b32_e32 v3, 0x7ff80000
	v_cmp_u_f64_e64 s[2:3], v[30:31], v[34:35]
	s_mov_b32 s6, 0
	v_cndmask_b32_e64 v45, v2, v3, s[2:3]
	v_cndmask_b32_e64 v44, v38, 0, s[2:3]
	s_mov_b32 s7, 0x41d00000
	v_cmp_ngt_f64_e64 s[6:7], s[6:7], v[44:45]
	v_trig_preop_f64 v[58:59], v[44:45], 0
	v_trig_preop_f64 v[56:57], v[44:45], 1
	;; [unrolled: 1-line block ×3, first 2 shown]
                                        ; implicit-def: $vgpr84
                                        ; implicit-def: $vgpr40_vgpr41
                                        ; implicit-def: $vgpr42_vgpr43
	s_and_saveexec_b64 s[8:9], s[6:7]
	s_xor_b64 s[20:21], exec, s[8:9]
	s_cbranch_execz .LBB1_36
; %bb.33:
	s_mov_b32 s8, 0
	s_mov_b32 s9, 0x7b000000
	s_movk_i32 s22, 0xff80
	v_ldexp_f64 v[30:31], v[44:45], s22
	v_cmp_le_f64_e32 vcc, s[8:9], v[44:45]
	v_cndmask_b32_e32 v31, v45, v31, vcc
	v_cndmask_b32_e32 v30, v44, v30, vcc
	v_mul_f64 v[40:41], v[58:59], v[30:31]
	v_mul_f64 v[36:37], v[56:57], v[30:31]
	v_fma_f64 v[42:43], v[58:59], v[30:31], -v[40:41]
	v_add_f64 v[46:47], v[36:37], v[42:43]
	v_add_f64 v[48:49], v[40:41], v[46:47]
	s_mov_b32 s8, 0
	v_ldexp_f64 v[50:51], v[48:49], -2
	s_mov_b32 s9, 0x7ff00000
	v_fract_f64_e32 v[52:53], v[50:51]
	v_cmp_neq_f64_e64 vcc, |v[50:51]|, s[8:9]
	v_cndmask_b32_e32 v51, 0, v53, vcc
	v_cndmask_b32_e32 v50, 0, v52, vcc
	v_add_f64 v[52:53], v[46:47], -v[36:37]
	v_add_f64 v[42:43], v[42:43], -v[52:53]
	;; [unrolled: 1-line block ×4, first 2 shown]
	v_add_f64 v[42:43], v[42:43], v[52:53]
	v_fma_f64 v[36:37], v[56:57], v[30:31], -v[36:37]
	v_mul_f64 v[52:53], v[54:55], v[30:31]
	v_add_f64 v[62:63], v[52:53], v[36:37]
	v_add_f64 v[64:65], v[62:63], v[42:43]
	v_add_f64 v[40:41], v[48:49], -v[40:41]
	v_add_f64 v[48:49], v[64:65], -v[62:63]
	;; [unrolled: 1-line block ×5, first 2 shown]
	v_add_f64 v[42:43], v[42:43], v[48:49]
	v_add_f64 v[48:49], v[62:63], -v[52:53]
	v_add_f64 v[36:37], v[36:37], -v[48:49]
	;; [unrolled: 1-line block ×5, first 2 shown]
	v_add_f64 v[46:47], v[40:41], v[64:65]
	v_add_f64 v[36:37], v[36:37], v[48:49]
	v_add_f64 v[40:41], v[46:47], -v[40:41]
	v_add_f64 v[36:37], v[36:37], v[42:43]
	v_fma_f64 v[30:31], v[54:55], v[30:31], -v[52:53]
	v_add_f64 v[40:41], v[64:65], -v[40:41]
	v_add_f64 v[30:31], v[30:31], v[36:37]
	v_ldexp_f64 v[36:37], v[50:51], 2
	v_add_f64 v[30:31], v[40:41], v[30:31]
	v_add_f64 v[40:41], v[46:47], v[36:37]
	v_mov_b32_e32 v2, 0x40100000
	v_cmp_gt_f64_e32 vcc, 0, v[40:41]
	v_mov_b32_e32 v60, 0
	v_cndmask_b32_e32 v61, 0, v2, vcc
	v_add_f64 v[36:37], v[36:37], v[60:61]
	v_add_f64 v[40:41], v[46:47], v[36:37]
	v_cvt_i32_f64_e32 v2, v[40:41]
	v_cvt_f64_i32_e32 v[40:41], v2
	v_add_f64 v[36:37], v[36:37], -v[40:41]
	v_add_f64 v[40:41], v[46:47], v[36:37]
	v_cmp_le_f64_e32 vcc, 0.5, v[40:41]
	v_add_f64 v[36:37], v[40:41], -v[36:37]
	v_addc_co_u32_e64 v84, s[8:9], 0, v2, vcc
	v_mov_b32_e32 v2, 0x3ff00000
	v_add_f64 v[36:37], v[46:47], -v[36:37]
	v_cndmask_b32_e32 v61, 0, v2, vcc
	v_add_f64 v[30:31], v[30:31], v[36:37]
	v_add_f64 v[36:37], v[40:41], -v[60:61]
	v_add_f64 v[40:41], v[36:37], v[30:31]
	v_add_f64 v[36:37], v[40:41], -v[36:37]
	v_add_f64 v[30:31], v[30:31], -v[36:37]
	v_mul_f64 v[36:37], v[40:41], s[18:19]
	s_mov_b32 s8, 0x33145c07
	v_fma_f64 v[42:43], v[40:41], s[18:19], -v[36:37]
	s_mov_b32 s9, 0x3c91a626
	v_fmac_f64_e32 v[42:43], s[8:9], v[40:41]
	v_fmac_f64_e32 v[42:43], s[18:19], v[30:31]
	v_add_f64 v[40:41], v[36:37], v[42:43]
	v_add_f64 v[30:31], v[40:41], -v[36:37]
	v_add_f64 v[42:43], v[42:43], -v[30:31]
	s_andn2_saveexec_b64 s[8:9], s[20:21]
	s_cbranch_execnz .LBB1_37
.LBB1_34:
	s_or_b64 exec, exec, s[8:9]
	s_and_b64 vcc, exec, s[10:11]
	s_cbranch_vccz .LBB1_38
.LBB1_35:
	s_mov_b32 s8, 0
	s_mov_b32 s9, 0x7b000000
	s_movk_i32 s18, 0xff80
	v_and_b32_e32 v2, 0x7fffffff, v11
	v_ldexp_f64 v[30:31], |v[10:11]|, s18
	v_cmp_ge_f64_e64 vcc, |v[10:11]|, s[8:9]
	v_cndmask_b32_e32 v31, v2, v31, vcc
	v_cndmask_b32_e32 v30, v10, v30, vcc
	v_mul_f64 v[46:47], v[12:13], v[30:31]
	v_mul_f64 v[36:37], v[8:9], v[30:31]
	v_fma_f64 v[48:49], v[12:13], v[30:31], -v[46:47]
	v_add_f64 v[50:51], v[36:37], v[48:49]
	v_add_f64 v[52:53], v[46:47], v[50:51]
	s_mov_b32 s8, 0
	v_ldexp_f64 v[60:61], v[52:53], -2
	s_mov_b32 s9, 0x7ff00000
	v_fract_f64_e32 v[62:63], v[60:61]
	v_cmp_neq_f64_e64 vcc, |v[60:61]|, s[8:9]
	v_cndmask_b32_e32 v61, 0, v63, vcc
	v_cndmask_b32_e32 v60, 0, v62, vcc
	v_add_f64 v[62:63], v[50:51], -v[36:37]
	v_add_f64 v[48:49], v[48:49], -v[62:63]
	v_add_f64 v[62:63], v[50:51], -v[62:63]
	v_add_f64 v[62:63], v[36:37], -v[62:63]
	v_add_f64 v[48:49], v[48:49], v[62:63]
	v_fma_f64 v[36:37], v[8:9], v[30:31], -v[36:37]
	v_mul_f64 v[62:63], v[6:7], v[30:31]
	v_add_f64 v[64:65], v[62:63], v[36:37]
	v_add_f64 v[66:67], v[64:65], v[48:49]
	v_add_f64 v[46:47], v[52:53], -v[46:47]
	v_add_f64 v[52:53], v[66:67], -v[64:65]
	;; [unrolled: 1-line block ×5, first 2 shown]
	v_add_f64 v[48:49], v[48:49], v[52:53]
	v_add_f64 v[52:53], v[64:65], -v[62:63]
	v_add_f64 v[36:37], v[36:37], -v[52:53]
	v_add_f64 v[52:53], v[64:65], -v[52:53]
	v_add_f64 v[46:47], v[50:51], -v[46:47]
	v_add_f64 v[52:53], v[62:63], -v[52:53]
	v_add_f64 v[50:51], v[46:47], v[66:67]
	v_add_f64 v[36:37], v[36:37], v[52:53]
	v_add_f64 v[46:47], v[50:51], -v[46:47]
	v_add_f64 v[36:37], v[36:37], v[48:49]
	v_fma_f64 v[30:31], v[6:7], v[30:31], -v[62:63]
	v_add_f64 v[46:47], v[66:67], -v[46:47]
	v_add_f64 v[30:31], v[30:31], v[36:37]
	v_ldexp_f64 v[36:37], v[60:61], 2
	v_add_f64 v[30:31], v[46:47], v[30:31]
	v_add_f64 v[46:47], v[50:51], v[36:37]
	v_cmp_gt_f64_e32 vcc, 0, v[46:47]
	s_and_b64 s[8:9], vcc, exec
	s_mov_b32 s20, 0
	s_cselect_b32 s21, 0x40100000, 0
	v_add_f64 v[36:37], v[36:37], s[20:21]
	v_add_f64 v[46:47], v[50:51], v[36:37]
	v_cvt_i32_f64_e32 v2, v[46:47]
	v_cvt_f64_i32_e32 v[46:47], v2
	v_add_f64 v[36:37], v[36:37], -v[46:47]
	v_add_f64 v[46:47], v[50:51], v[36:37]
	v_cmp_le_f64_e32 vcc, 0.5, v[46:47]
	v_add_f64 v[36:37], v[46:47], -v[36:37]
	s_and_b64 s[8:9], vcc, exec
	v_add_f64 v[36:37], v[50:51], -v[36:37]
	s_cselect_b32 s21, 0x3ff00000, 0
	v_add_f64 v[30:31], v[30:31], v[36:37]
	v_addc_co_u32_e64 v83, s[8:9], 0, v2, vcc
	v_add_f64 v[36:37], v[46:47], -s[20:21]
	v_add_f64 v[46:47], v[36:37], v[30:31]
	s_mov_b32 s8, 0x54442d18
	v_add_f64 v[36:37], v[46:47], -v[36:37]
	s_mov_b32 s9, 0x3ff921fb
	v_add_f64 v[30:31], v[30:31], -v[36:37]
	v_mul_f64 v[36:37], v[46:47], s[8:9]
	s_mov_b32 s20, 0x33145c07
	v_fma_f64 v[48:49], v[46:47], s[8:9], -v[36:37]
	s_mov_b32 s21, 0x3c91a626
	v_fmac_f64_e32 v[48:49], s[20:21], v[46:47]
	v_fmac_f64_e32 v[48:49], s[8:9], v[30:31]
	v_add_f64 v[30:31], v[36:37], v[48:49]
	v_add_f64 v[36:37], v[30:31], -v[36:37]
	v_add_f64 v[36:37], v[48:49], -v[36:37]
	s_cbranch_execz .LBB1_39
	s_branch .LBB1_40
.LBB1_36:
	s_andn2_saveexec_b64 s[8:9], s[20:21]
	s_cbranch_execz .LBB1_34
.LBB1_37:
	s_mov_b32 s18, 0x6dc9c883
	s_mov_b32 s19, 0x3fe45f30
	v_mul_f64 v[30:31], v[44:45], s[18:19]
	s_mov_b32 s18, 0x54442d18
	v_rndne_f64_e32 v[30:31], v[30:31]
	s_mov_b32 s19, 0xbff921fb
	v_fma_f64 v[36:37], s[18:19], v[30:31], v[44:45]
	s_mov_b32 s19, 0xbc91a626
	s_mov_b32 s18, 0x33145c00
	v_mul_f64 v[40:41], v[30:31], s[18:19]
	v_add_f64 v[48:49], v[36:37], v[40:41]
	v_fma_f64 v[42:43], s[18:19], v[30:31], v[36:37]
	s_mov_b32 s19, 0x3c91a626
	v_add_f64 v[36:37], v[36:37], -v[48:49]
	v_fma_f64 v[46:47], s[18:19], v[30:31], v[40:41]
	v_add_f64 v[36:37], v[36:37], v[40:41]
	v_add_f64 v[40:41], v[48:49], -v[42:43]
	v_add_f64 v[36:37], v[40:41], v[36:37]
	s_mov_b32 s18, 0x252049c0
	v_add_f64 v[36:37], v[36:37], -v[46:47]
	s_mov_b32 s19, 0xb97b839a
	v_fmac_f64_e32 v[36:37], s[18:19], v[30:31]
	v_add_f64 v[40:41], v[42:43], v[36:37]
	v_add_f64 v[42:43], v[40:41], -v[42:43]
	v_add_f64 v[42:43], v[36:37], -v[42:43]
	v_cvt_i32_f64_e32 v84, v[30:31]
	s_or_b64 exec, exec, s[8:9]
	s_and_b64 vcc, exec, s[10:11]
	s_cbranch_vccnz .LBB1_35
.LBB1_38:
                                        ; implicit-def: $vgpr83
                                        ; implicit-def: $vgpr30_vgpr31
                                        ; implicit-def: $vgpr36_vgpr37
.LBB1_39:
	s_mov_b32 s8, 0x6dc9c883
	s_mov_b32 s9, 0x3fe45f30
	v_mul_f64 v[30:31], |v[10:11]|, s[8:9]
	s_mov_b32 s8, 0x54442d18
	v_rndne_f64_e32 v[46:47], v[30:31]
	s_mov_b32 s9, 0xbff921fb
	v_fma_f64 v[30:31], v[46:47], s[8:9], |v[10:11]|
	s_mov_b32 s9, 0xbc91a626
	s_mov_b32 s8, 0x33145c00
	v_mul_f64 v[48:49], v[46:47], s[8:9]
	v_add_f64 v[52:53], v[30:31], v[48:49]
	v_fma_f64 v[36:37], s[8:9], v[46:47], v[30:31]
	s_mov_b32 s9, 0x3c91a626
	v_add_f64 v[30:31], v[30:31], -v[52:53]
	v_fma_f64 v[50:51], s[8:9], v[46:47], v[48:49]
	v_add_f64 v[30:31], v[30:31], v[48:49]
	v_add_f64 v[48:49], v[52:53], -v[36:37]
	v_add_f64 v[30:31], v[48:49], v[30:31]
	s_mov_b32 s8, 0x252049c0
	v_add_f64 v[48:49], v[30:31], -v[50:51]
	s_mov_b32 s9, 0xb97b839a
	v_fmac_f64_e32 v[48:49], s[8:9], v[46:47]
	v_add_f64 v[30:31], v[36:37], v[48:49]
	v_add_f64 v[36:37], v[30:31], -v[36:37]
	v_add_f64 v[36:37], v[48:49], -v[36:37]
	v_cvt_i32_f64_e32 v83, v[46:47]
.LBB1_40:
                                        ; implicit-def: $vgpr85
                                        ; implicit-def: $vgpr46_vgpr47
                                        ; implicit-def: $vgpr48_vgpr49
	s_and_saveexec_b64 s[8:9], s[14:15]
	s_xor_b64 s[18:19], exec, s[8:9]
	s_cbranch_execz .LBB1_42
; %bb.41:
	s_mov_b32 s8, 0
	s_mov_b32 s9, 0x7b000000
	s_movk_i32 s20, 0xff80
	v_and_b32_e32 v2, 0x7fffffff, v101
	v_ldexp_f64 v[46:47], |v[100:101]|, s20
	v_cmp_ge_f64_e64 vcc, |v[100:101]|, s[8:9]
	v_cndmask_b32_e32 v47, v2, v47, vcc
	v_cndmask_b32_e32 v46, v100, v46, vcc
	v_mul_f64 v[50:51], v[24:25], v[46:47]
	v_mul_f64 v[48:49], v[22:23], v[46:47]
	v_fma_f64 v[52:53], v[24:25], v[46:47], -v[50:51]
	v_add_f64 v[60:61], v[48:49], v[52:53]
	v_add_f64 v[62:63], v[50:51], v[60:61]
	s_mov_b32 s8, 0
	v_ldexp_f64 v[64:65], v[62:63], -2
	s_mov_b32 s9, 0x7ff00000
	v_fract_f64_e32 v[66:67], v[64:65]
	v_cmp_neq_f64_e64 vcc, |v[64:65]|, s[8:9]
	v_cndmask_b32_e32 v65, 0, v67, vcc
	v_cndmask_b32_e32 v64, 0, v66, vcc
	v_add_f64 v[66:67], v[60:61], -v[48:49]
	v_add_f64 v[52:53], v[52:53], -v[66:67]
	;; [unrolled: 1-line block ×4, first 2 shown]
	v_add_f64 v[52:53], v[52:53], v[66:67]
	v_fma_f64 v[48:49], v[22:23], v[46:47], -v[48:49]
	v_mul_f64 v[66:67], v[20:21], v[46:47]
	v_add_f64 v[70:71], v[66:67], v[48:49]
	v_add_f64 v[72:73], v[70:71], v[52:53]
	v_add_f64 v[50:51], v[62:63], -v[50:51]
	v_add_f64 v[62:63], v[72:73], -v[70:71]
	;; [unrolled: 1-line block ×5, first 2 shown]
	v_add_f64 v[52:53], v[52:53], v[62:63]
	v_add_f64 v[62:63], v[70:71], -v[66:67]
	v_add_f64 v[48:49], v[48:49], -v[62:63]
	;; [unrolled: 1-line block ×5, first 2 shown]
	v_add_f64 v[60:61], v[50:51], v[72:73]
	v_add_f64 v[48:49], v[48:49], v[62:63]
	v_add_f64 v[50:51], v[60:61], -v[50:51]
	v_add_f64 v[48:49], v[48:49], v[52:53]
	v_fma_f64 v[46:47], v[20:21], v[46:47], -v[66:67]
	v_add_f64 v[50:51], v[72:73], -v[50:51]
	v_add_f64 v[46:47], v[46:47], v[48:49]
	v_ldexp_f64 v[48:49], v[64:65], 2
	v_add_f64 v[46:47], v[50:51], v[46:47]
	v_add_f64 v[50:51], v[60:61], v[48:49]
	v_mov_b32_e32 v2, 0x40100000
	v_cmp_gt_f64_e32 vcc, 0, v[50:51]
	v_mov_b32_e32 v68, 0
	v_cndmask_b32_e32 v69, 0, v2, vcc
	v_add_f64 v[48:49], v[48:49], v[68:69]
	v_add_f64 v[50:51], v[60:61], v[48:49]
	v_cvt_i32_f64_e32 v2, v[50:51]
	v_cvt_f64_i32_e32 v[50:51], v2
	v_add_f64 v[48:49], v[48:49], -v[50:51]
	v_add_f64 v[50:51], v[60:61], v[48:49]
	v_cmp_le_f64_e32 vcc, 0.5, v[50:51]
	v_add_f64 v[48:49], v[50:51], -v[48:49]
	v_addc_co_u32_e64 v85, s[8:9], 0, v2, vcc
	v_mov_b32_e32 v2, 0x3ff00000
	v_add_f64 v[48:49], v[60:61], -v[48:49]
	v_cndmask_b32_e32 v69, 0, v2, vcc
	v_add_f64 v[46:47], v[46:47], v[48:49]
	v_add_f64 v[48:49], v[50:51], -v[68:69]
	v_add_f64 v[50:51], v[48:49], v[46:47]
	s_mov_b32 s8, 0x54442d18
	v_add_f64 v[48:49], v[50:51], -v[48:49]
	s_mov_b32 s9, 0x3ff921fb
	v_add_f64 v[46:47], v[46:47], -v[48:49]
	v_mul_f64 v[48:49], v[50:51], s[8:9]
	s_mov_b32 s20, 0x33145c07
	v_fma_f64 v[52:53], v[50:51], s[8:9], -v[48:49]
	s_mov_b32 s21, 0x3c91a626
	v_fmac_f64_e32 v[52:53], s[20:21], v[50:51]
	v_fmac_f64_e32 v[52:53], s[8:9], v[46:47]
	v_add_f64 v[46:47], v[48:49], v[52:53]
	v_add_f64 v[48:49], v[46:47], -v[48:49]
	v_add_f64 v[48:49], v[52:53], -v[48:49]
	s_andn2_saveexec_b64 s[8:9], s[18:19]
	s_cbranch_execz .LBB1_44
	s_branch .LBB1_43
.LBB1_42:
	s_andn2_saveexec_b64 s[8:9], s[18:19]
	s_cbranch_execz .LBB1_44
.LBB1_43:
	s_mov_b32 s18, 0x6dc9c883
	s_mov_b32 s19, 0x3fe45f30
	v_mul_f64 v[46:47], |v[100:101]|, s[18:19]
	s_mov_b32 s18, 0x54442d18
	v_rndne_f64_e32 v[50:51], v[46:47]
	s_mov_b32 s19, 0xbff921fb
	v_fma_f64 v[46:47], v[50:51], s[18:19], |v[100:101]|
	s_mov_b32 s19, 0xbc91a626
	s_mov_b32 s18, 0x33145c00
	v_mul_f64 v[52:53], v[50:51], s[18:19]
	v_add_f64 v[62:63], v[46:47], v[52:53]
	v_fma_f64 v[48:49], s[18:19], v[50:51], v[46:47]
	s_mov_b32 s19, 0x3c91a626
	v_add_f64 v[46:47], v[46:47], -v[62:63]
	v_fma_f64 v[60:61], s[18:19], v[50:51], v[52:53]
	v_add_f64 v[46:47], v[46:47], v[52:53]
	v_add_f64 v[52:53], v[62:63], -v[48:49]
	v_add_f64 v[46:47], v[52:53], v[46:47]
	s_mov_b32 s18, 0x252049c0
	v_add_f64 v[52:53], v[46:47], -v[60:61]
	s_mov_b32 s19, 0xb97b839a
	v_fmac_f64_e32 v[52:53], s[18:19], v[50:51]
	v_add_f64 v[46:47], v[48:49], v[52:53]
	v_add_f64 v[48:49], v[46:47], -v[48:49]
	v_add_f64 v[48:49], v[52:53], -v[48:49]
	v_cvt_i32_f64_e32 v85, v[50:51]
.LBB1_44:
	s_or_b64 exec, exec, s[8:9]
                                        ; implicit-def: $vgpr86
                                        ; implicit-def: $vgpr50_vgpr51
                                        ; implicit-def: $vgpr52_vgpr53
	s_and_saveexec_b64 s[8:9], s[14:15]
	s_xor_b64 s[18:19], exec, s[8:9]
	s_cbranch_execz .LBB1_48
; %bb.45:
	s_mov_b32 s8, 0
	s_mov_b32 s9, 0x7b000000
	s_movk_i32 s20, 0xff80
	v_and_b32_e32 v2, 0x7fffffff, v101
	v_ldexp_f64 v[50:51], |v[100:101]|, s20
	v_cmp_ge_f64_e64 vcc, |v[100:101]|, s[8:9]
	v_cndmask_b32_e32 v51, v2, v51, vcc
	v_cndmask_b32_e32 v50, v100, v50, vcc
	v_mul_f64 v[60:61], v[24:25], v[50:51]
	v_mul_f64 v[52:53], v[22:23], v[50:51]
	v_fma_f64 v[62:63], v[24:25], v[50:51], -v[60:61]
	v_add_f64 v[64:65], v[52:53], v[62:63]
	v_add_f64 v[66:67], v[60:61], v[64:65]
	s_mov_b32 s8, 0
	v_ldexp_f64 v[68:69], v[66:67], -2
	s_mov_b32 s9, 0x7ff00000
	v_fract_f64_e32 v[70:71], v[68:69]
	v_cmp_neq_f64_e64 vcc, |v[68:69]|, s[8:9]
	v_cndmask_b32_e32 v69, 0, v71, vcc
	v_cndmask_b32_e32 v68, 0, v70, vcc
	v_add_f64 v[70:71], v[64:65], -v[52:53]
	v_add_f64 v[62:63], v[62:63], -v[70:71]
	;; [unrolled: 1-line block ×4, first 2 shown]
	v_add_f64 v[62:63], v[62:63], v[70:71]
	v_fma_f64 v[52:53], v[22:23], v[50:51], -v[52:53]
	v_mul_f64 v[70:71], v[20:21], v[50:51]
	v_add_f64 v[74:75], v[70:71], v[52:53]
	v_add_f64 v[76:77], v[74:75], v[62:63]
	v_add_f64 v[60:61], v[66:67], -v[60:61]
	v_add_f64 v[66:67], v[76:77], -v[74:75]
	;; [unrolled: 1-line block ×5, first 2 shown]
	v_add_f64 v[62:63], v[62:63], v[66:67]
	v_add_f64 v[66:67], v[74:75], -v[70:71]
	v_add_f64 v[52:53], v[52:53], -v[66:67]
	;; [unrolled: 1-line block ×5, first 2 shown]
	v_add_f64 v[64:65], v[60:61], v[76:77]
	v_add_f64 v[52:53], v[52:53], v[66:67]
	v_add_f64 v[60:61], v[64:65], -v[60:61]
	v_add_f64 v[52:53], v[52:53], v[62:63]
	v_fma_f64 v[50:51], v[20:21], v[50:51], -v[70:71]
	v_add_f64 v[60:61], v[76:77], -v[60:61]
	v_add_f64 v[50:51], v[50:51], v[52:53]
	v_ldexp_f64 v[52:53], v[68:69], 2
	v_add_f64 v[50:51], v[60:61], v[50:51]
	v_add_f64 v[60:61], v[64:65], v[52:53]
	v_mov_b32_e32 v2, 0x40100000
	v_cmp_gt_f64_e32 vcc, 0, v[60:61]
	v_mov_b32_e32 v72, 0
	v_cndmask_b32_e32 v73, 0, v2, vcc
	v_add_f64 v[52:53], v[52:53], v[72:73]
	v_add_f64 v[60:61], v[64:65], v[52:53]
	v_cvt_i32_f64_e32 v2, v[60:61]
	v_cvt_f64_i32_e32 v[60:61], v2
	v_add_f64 v[52:53], v[52:53], -v[60:61]
	v_add_f64 v[60:61], v[64:65], v[52:53]
	v_cmp_le_f64_e32 vcc, 0.5, v[60:61]
	v_add_f64 v[52:53], v[60:61], -v[52:53]
	v_addc_co_u32_e64 v86, s[8:9], 0, v2, vcc
	v_mov_b32_e32 v2, 0x3ff00000
	v_add_f64 v[52:53], v[64:65], -v[52:53]
	v_cndmask_b32_e32 v73, 0, v2, vcc
	v_add_f64 v[50:51], v[50:51], v[52:53]
	v_add_f64 v[52:53], v[60:61], -v[72:73]
	v_add_f64 v[60:61], v[52:53], v[50:51]
	s_mov_b32 s8, 0x54442d18
	v_add_f64 v[52:53], v[60:61], -v[52:53]
	s_mov_b32 s9, 0x3ff921fb
	v_add_f64 v[50:51], v[50:51], -v[52:53]
	v_mul_f64 v[52:53], v[60:61], s[8:9]
	s_mov_b32 s20, 0x33145c07
	v_fma_f64 v[62:63], v[60:61], s[8:9], -v[52:53]
	s_mov_b32 s21, 0x3c91a626
	v_fmac_f64_e32 v[62:63], s[20:21], v[60:61]
	v_fmac_f64_e32 v[62:63], s[8:9], v[50:51]
	v_add_f64 v[50:51], v[52:53], v[62:63]
	v_add_f64 v[52:53], v[50:51], -v[52:53]
	v_add_f64 v[52:53], v[62:63], -v[52:53]
	s_andn2_saveexec_b64 s[8:9], s[18:19]
	s_cbranch_execnz .LBB1_49
.LBB1_46:
	s_or_b64 exec, exec, s[8:9]
	s_and_b64 vcc, exec, s[10:11]
	s_cbranch_vccz .LBB1_50
.LBB1_47:
	s_mov_b32 s8, 0
	s_mov_b32 s9, 0x7b000000
	s_movk_i32 s18, 0xff80
	v_and_b32_e32 v2, 0x7fffffff, v11
	v_ldexp_f64 v[60:61], |v[10:11]|, s18
	v_cmp_ge_f64_e64 vcc, |v[10:11]|, s[8:9]
	v_cndmask_b32_e32 v61, v2, v61, vcc
	v_cndmask_b32_e32 v60, v10, v60, vcc
	v_mul_f64 v[64:65], v[12:13], v[60:61]
	v_mul_f64 v[62:63], v[8:9], v[60:61]
	v_fma_f64 v[66:67], v[12:13], v[60:61], -v[64:65]
	v_add_f64 v[68:69], v[62:63], v[66:67]
	v_add_f64 v[70:71], v[64:65], v[68:69]
	s_mov_b32 s8, 0
	v_ldexp_f64 v[72:73], v[70:71], -2
	s_mov_b32 s9, 0x7ff00000
	v_fract_f64_e32 v[74:75], v[72:73]
	v_cmp_neq_f64_e64 vcc, |v[72:73]|, s[8:9]
	v_cndmask_b32_e32 v73, 0, v75, vcc
	v_cndmask_b32_e32 v72, 0, v74, vcc
	v_add_f64 v[74:75], v[68:69], -v[62:63]
	v_add_f64 v[66:67], v[66:67], -v[74:75]
	;; [unrolled: 1-line block ×4, first 2 shown]
	v_add_f64 v[66:67], v[66:67], v[74:75]
	v_fma_f64 v[62:63], v[8:9], v[60:61], -v[62:63]
	v_mul_f64 v[74:75], v[6:7], v[60:61]
	v_add_f64 v[76:77], v[74:75], v[62:63]
	v_add_f64 v[88:89], v[76:77], v[66:67]
	v_add_f64 v[64:65], v[70:71], -v[64:65]
	v_add_f64 v[70:71], v[88:89], -v[76:77]
	;; [unrolled: 1-line block ×5, first 2 shown]
	v_add_f64 v[66:67], v[66:67], v[70:71]
	v_add_f64 v[70:71], v[76:77], -v[74:75]
	v_add_f64 v[62:63], v[62:63], -v[70:71]
	;; [unrolled: 1-line block ×5, first 2 shown]
	v_add_f64 v[68:69], v[64:65], v[88:89]
	v_add_f64 v[62:63], v[62:63], v[70:71]
	v_add_f64 v[64:65], v[68:69], -v[64:65]
	v_add_f64 v[62:63], v[62:63], v[66:67]
	v_fma_f64 v[60:61], v[6:7], v[60:61], -v[74:75]
	v_add_f64 v[64:65], v[88:89], -v[64:65]
	v_add_f64 v[60:61], v[60:61], v[62:63]
	v_ldexp_f64 v[62:63], v[72:73], 2
	v_add_f64 v[60:61], v[64:65], v[60:61]
	v_add_f64 v[64:65], v[68:69], v[62:63]
	v_cmp_gt_f64_e32 vcc, 0, v[64:65]
	s_and_b64 s[8:9], vcc, exec
	s_mov_b32 s20, 0
	s_cselect_b32 s21, 0x40100000, 0
	v_add_f64 v[62:63], v[62:63], s[20:21]
	v_add_f64 v[64:65], v[68:69], v[62:63]
	v_cvt_i32_f64_e32 v2, v[64:65]
	v_cvt_f64_i32_e32 v[64:65], v2
	v_add_f64 v[62:63], v[62:63], -v[64:65]
	v_add_f64 v[64:65], v[68:69], v[62:63]
	v_cmp_le_f64_e32 vcc, 0.5, v[64:65]
	v_add_f64 v[62:63], v[64:65], -v[62:63]
	s_and_b64 s[8:9], vcc, exec
	v_add_f64 v[62:63], v[68:69], -v[62:63]
	s_cselect_b32 s21, 0x3ff00000, 0
	v_add_f64 v[60:61], v[60:61], v[62:63]
	v_addc_co_u32_e64 v88, s[8:9], 0, v2, vcc
	v_add_f64 v[62:63], v[64:65], -s[20:21]
	v_add_f64 v[64:65], v[62:63], v[60:61]
	s_mov_b32 s8, 0x54442d18
	v_add_f64 v[62:63], v[64:65], -v[62:63]
	s_mov_b32 s9, 0x3ff921fb
	v_add_f64 v[60:61], v[60:61], -v[62:63]
	v_mul_f64 v[62:63], v[64:65], s[8:9]
	s_mov_b32 s20, 0x33145c07
	v_fma_f64 v[66:67], v[64:65], s[8:9], -v[62:63]
	s_mov_b32 s21, 0x3c91a626
	v_fmac_f64_e32 v[66:67], s[20:21], v[64:65]
	v_fmac_f64_e32 v[66:67], s[8:9], v[60:61]
	v_add_f64 v[60:61], v[62:63], v[66:67]
	v_add_f64 v[62:63], v[60:61], -v[62:63]
	v_add_f64 v[62:63], v[66:67], -v[62:63]
	s_cbranch_execz .LBB1_51
	s_branch .LBB1_52
.LBB1_48:
	s_andn2_saveexec_b64 s[8:9], s[18:19]
	s_cbranch_execz .LBB1_46
.LBB1_49:
	s_mov_b32 s18, 0x6dc9c883
	s_mov_b32 s19, 0x3fe45f30
	v_mul_f64 v[50:51], |v[100:101]|, s[18:19]
	s_mov_b32 s18, 0x54442d18
	v_rndne_f64_e32 v[60:61], v[50:51]
	s_mov_b32 s19, 0xbff921fb
	v_fma_f64 v[50:51], v[60:61], s[18:19], |v[100:101]|
	s_mov_b32 s19, 0xbc91a626
	s_mov_b32 s18, 0x33145c00
	v_mul_f64 v[62:63], v[60:61], s[18:19]
	v_add_f64 v[66:67], v[50:51], v[62:63]
	v_fma_f64 v[52:53], s[18:19], v[60:61], v[50:51]
	s_mov_b32 s19, 0x3c91a626
	v_add_f64 v[50:51], v[50:51], -v[66:67]
	v_fma_f64 v[64:65], s[18:19], v[60:61], v[62:63]
	v_add_f64 v[50:51], v[50:51], v[62:63]
	v_add_f64 v[62:63], v[66:67], -v[52:53]
	v_add_f64 v[50:51], v[62:63], v[50:51]
	s_mov_b32 s18, 0x252049c0
	v_add_f64 v[62:63], v[50:51], -v[64:65]
	s_mov_b32 s19, 0xb97b839a
	v_fmac_f64_e32 v[62:63], s[18:19], v[60:61]
	v_add_f64 v[50:51], v[52:53], v[62:63]
	v_add_f64 v[52:53], v[50:51], -v[52:53]
	v_add_f64 v[52:53], v[62:63], -v[52:53]
	v_cvt_i32_f64_e32 v86, v[60:61]
	s_or_b64 exec, exec, s[8:9]
	s_and_b64 vcc, exec, s[10:11]
	s_cbranch_vccnz .LBB1_47
.LBB1_50:
                                        ; implicit-def: $vgpr88
                                        ; implicit-def: $vgpr60_vgpr61
                                        ; implicit-def: $vgpr62_vgpr63
.LBB1_51:
	s_mov_b32 s8, 0x6dc9c883
	s_mov_b32 s9, 0x3fe45f30
	v_mul_f64 v[60:61], |v[10:11]|, s[8:9]
	s_mov_b32 s8, 0x54442d18
	v_rndne_f64_e32 v[64:65], v[60:61]
	s_mov_b32 s9, 0xbff921fb
	v_fma_f64 v[60:61], v[64:65], s[8:9], |v[10:11]|
	s_mov_b32 s9, 0xbc91a626
	s_mov_b32 s8, 0x33145c00
	v_mul_f64 v[66:67], v[64:65], s[8:9]
	v_add_f64 v[70:71], v[60:61], v[66:67]
	v_fma_f64 v[62:63], s[8:9], v[64:65], v[60:61]
	s_mov_b32 s9, 0x3c91a626
	v_add_f64 v[60:61], v[60:61], -v[70:71]
	v_fma_f64 v[68:69], s[8:9], v[64:65], v[66:67]
	v_add_f64 v[60:61], v[60:61], v[66:67]
	v_add_f64 v[66:67], v[70:71], -v[62:63]
	v_add_f64 v[60:61], v[66:67], v[60:61]
	s_mov_b32 s8, 0x252049c0
	v_add_f64 v[66:67], v[60:61], -v[68:69]
	s_mov_b32 s9, 0xb97b839a
	v_fmac_f64_e32 v[66:67], s[8:9], v[64:65]
	v_add_f64 v[60:61], v[62:63], v[66:67]
	v_add_f64 v[62:63], v[60:61], -v[62:63]
	v_add_f64 v[62:63], v[66:67], -v[62:63]
	v_cvt_i32_f64_e32 v88, v[64:65]
.LBB1_52:
                                        ; implicit-def: $vgpr89
                                        ; implicit-def: $vgpr64_vgpr65
                                        ; implicit-def: $vgpr66_vgpr67
	s_and_saveexec_b64 s[8:9], s[14:15]
	s_xor_b64 s[18:19], exec, s[8:9]
	s_cbranch_execz .LBB1_54
; %bb.53:
	s_mov_b32 s8, 0
	s_mov_b32 s9, 0x7b000000
	s_movk_i32 s20, 0xff80
	v_and_b32_e32 v2, 0x7fffffff, v101
	v_ldexp_f64 v[64:65], |v[100:101]|, s20
	v_cmp_ge_f64_e64 vcc, |v[100:101]|, s[8:9]
	v_cndmask_b32_e32 v65, v2, v65, vcc
	v_cndmask_b32_e32 v64, v100, v64, vcc
	v_mul_f64 v[68:69], v[24:25], v[64:65]
	v_mul_f64 v[66:67], v[22:23], v[64:65]
	v_fma_f64 v[70:71], v[24:25], v[64:65], -v[68:69]
	v_add_f64 v[72:73], v[66:67], v[70:71]
	v_add_f64 v[74:75], v[68:69], v[72:73]
	s_mov_b32 s8, 0
	v_ldexp_f64 v[76:77], v[74:75], -2
	s_mov_b32 s9, 0x7ff00000
	v_fract_f64_e32 v[90:91], v[76:77]
	v_cmp_neq_f64_e64 vcc, |v[76:77]|, s[8:9]
	v_cndmask_b32_e32 v77, 0, v91, vcc
	v_cndmask_b32_e32 v76, 0, v90, vcc
	v_add_f64 v[90:91], v[72:73], -v[66:67]
	v_add_f64 v[70:71], v[70:71], -v[90:91]
	;; [unrolled: 1-line block ×4, first 2 shown]
	v_add_f64 v[70:71], v[70:71], v[90:91]
	v_fma_f64 v[66:67], v[22:23], v[64:65], -v[66:67]
	v_mul_f64 v[90:91], v[20:21], v[64:65]
	v_add_f64 v[94:95], v[90:91], v[66:67]
	v_add_f64 v[96:97], v[94:95], v[70:71]
	v_add_f64 v[68:69], v[74:75], -v[68:69]
	v_add_f64 v[74:75], v[96:97], -v[94:95]
	;; [unrolled: 1-line block ×5, first 2 shown]
	v_add_f64 v[70:71], v[70:71], v[74:75]
	v_add_f64 v[74:75], v[94:95], -v[90:91]
	v_add_f64 v[66:67], v[66:67], -v[74:75]
	;; [unrolled: 1-line block ×5, first 2 shown]
	v_add_f64 v[72:73], v[68:69], v[96:97]
	v_add_f64 v[66:67], v[66:67], v[74:75]
	v_add_f64 v[68:69], v[72:73], -v[68:69]
	v_add_f64 v[66:67], v[66:67], v[70:71]
	v_fma_f64 v[64:65], v[20:21], v[64:65], -v[90:91]
	v_add_f64 v[68:69], v[96:97], -v[68:69]
	v_add_f64 v[64:65], v[64:65], v[66:67]
	v_ldexp_f64 v[66:67], v[76:77], 2
	v_add_f64 v[64:65], v[68:69], v[64:65]
	v_add_f64 v[68:69], v[72:73], v[66:67]
	v_mov_b32_e32 v2, 0x40100000
	v_cmp_gt_f64_e32 vcc, 0, v[68:69]
	v_mov_b32_e32 v92, 0
	v_cndmask_b32_e32 v93, 0, v2, vcc
	v_add_f64 v[66:67], v[66:67], v[92:93]
	v_add_f64 v[68:69], v[72:73], v[66:67]
	v_cvt_i32_f64_e32 v2, v[68:69]
	v_cvt_f64_i32_e32 v[68:69], v2
	v_add_f64 v[66:67], v[66:67], -v[68:69]
	v_add_f64 v[68:69], v[72:73], v[66:67]
	v_cmp_le_f64_e32 vcc, 0.5, v[68:69]
	v_add_f64 v[66:67], v[68:69], -v[66:67]
	v_addc_co_u32_e64 v89, s[8:9], 0, v2, vcc
	v_mov_b32_e32 v2, 0x3ff00000
	v_add_f64 v[66:67], v[72:73], -v[66:67]
	v_cndmask_b32_e32 v93, 0, v2, vcc
	v_add_f64 v[64:65], v[64:65], v[66:67]
	v_add_f64 v[66:67], v[68:69], -v[92:93]
	v_add_f64 v[68:69], v[66:67], v[64:65]
	s_mov_b32 s8, 0x54442d18
	v_add_f64 v[66:67], v[68:69], -v[66:67]
	s_mov_b32 s9, 0x3ff921fb
	v_add_f64 v[64:65], v[64:65], -v[66:67]
	v_mul_f64 v[66:67], v[68:69], s[8:9]
	s_mov_b32 s20, 0x33145c07
	v_fma_f64 v[70:71], v[68:69], s[8:9], -v[66:67]
	s_mov_b32 s21, 0x3c91a626
	v_fmac_f64_e32 v[70:71], s[20:21], v[68:69]
	v_fmac_f64_e32 v[70:71], s[8:9], v[64:65]
	v_add_f64 v[64:65], v[66:67], v[70:71]
	v_add_f64 v[66:67], v[64:65], -v[66:67]
	v_add_f64 v[66:67], v[70:71], -v[66:67]
	s_andn2_saveexec_b64 s[8:9], s[18:19]
	s_cbranch_execnz .LBB1_55
	s_branch .LBB1_56
.LBB1_54:
	s_andn2_saveexec_b64 s[8:9], s[18:19]
	s_cbranch_execz .LBB1_56
.LBB1_55:
	s_mov_b32 s18, 0x6dc9c883
	s_mov_b32 s19, 0x3fe45f30
	v_mul_f64 v[64:65], |v[100:101]|, s[18:19]
	s_mov_b32 s18, 0x54442d18
	v_rndne_f64_e32 v[68:69], v[64:65]
	s_mov_b32 s19, 0xbff921fb
	v_fma_f64 v[64:65], v[68:69], s[18:19], |v[100:101]|
	s_mov_b32 s19, 0xbc91a626
	s_mov_b32 s18, 0x33145c00
	v_mul_f64 v[70:71], v[68:69], s[18:19]
	v_add_f64 v[74:75], v[64:65], v[70:71]
	v_fma_f64 v[66:67], s[18:19], v[68:69], v[64:65]
	s_mov_b32 s19, 0x3c91a626
	v_add_f64 v[64:65], v[64:65], -v[74:75]
	v_fma_f64 v[72:73], s[18:19], v[68:69], v[70:71]
	v_add_f64 v[64:65], v[64:65], v[70:71]
	v_add_f64 v[70:71], v[74:75], -v[66:67]
	v_add_f64 v[64:65], v[70:71], v[64:65]
	s_mov_b32 s18, 0x252049c0
	v_add_f64 v[70:71], v[64:65], -v[72:73]
	s_mov_b32 s19, 0xb97b839a
	v_fmac_f64_e32 v[70:71], s[18:19], v[68:69]
	v_add_f64 v[64:65], v[66:67], v[70:71]
	v_add_f64 v[66:67], v[64:65], -v[66:67]
	v_add_f64 v[66:67], v[70:71], -v[66:67]
	v_cvt_i32_f64_e32 v89, v[68:69]
.LBB1_56:
	s_or_b64 exec, exec, s[8:9]
                                        ; implicit-def: $vgpr90
                                        ; implicit-def: $vgpr68_vgpr69
                                        ; implicit-def: $vgpr70_vgpr71
	s_mov_b64 s[8:9], exec
	s_and_b64 s[20:21], s[8:9], s[14:15]
	s_xor_b64 s[18:19], s[20:21], s[8:9]
	v_pk_mov_b32 v[4:5], v[100:101], v[100:101] op_sel:[0,1]
	s_mov_b64 exec, s[20:21]
	s_cbranch_execz .LBB1_60
; %bb.57:
	s_mov_b32 s8, 0
	s_mov_b32 s9, 0x7b000000
	s_movk_i32 s20, 0xff80
	v_and_b32_e32 v2, 0x7fffffff, v101
	v_ldexp_f64 v[68:69], |v[100:101]|, s20
	v_cmp_ge_f64_e64 vcc, |v[100:101]|, s[8:9]
	v_cndmask_b32_e32 v69, v2, v69, vcc
	v_cndmask_b32_e32 v68, v100, v68, vcc
	v_mul_f64 v[72:73], v[24:25], v[68:69]
	v_mul_f64 v[70:71], v[22:23], v[68:69]
	v_fma_f64 v[74:75], v[24:25], v[68:69], -v[72:73]
	v_add_f64 v[76:77], v[70:71], v[74:75]
	v_add_f64 v[90:91], v[72:73], v[76:77]
	s_mov_b32 s8, 0
	v_ldexp_f64 v[92:93], v[90:91], -2
	s_mov_b32 s9, 0x7ff00000
	v_fract_f64_e32 v[94:95], v[92:93]
	v_cmp_neq_f64_e64 vcc, |v[92:93]|, s[8:9]
	v_cndmask_b32_e32 v93, 0, v95, vcc
	v_cndmask_b32_e32 v92, 0, v94, vcc
	v_add_f64 v[94:95], v[76:77], -v[70:71]
	v_add_f64 v[74:75], v[74:75], -v[94:95]
	;; [unrolled: 1-line block ×4, first 2 shown]
	v_add_f64 v[74:75], v[74:75], v[94:95]
	v_fma_f64 v[70:71], v[22:23], v[68:69], -v[70:71]
	v_mul_f64 v[94:95], v[20:21], v[68:69]
	v_add_f64 v[98:99], v[94:95], v[70:71]
	v_add_f64 v[100:101], v[98:99], v[74:75]
	v_add_f64 v[72:73], v[90:91], -v[72:73]
	v_add_f64 v[90:91], v[100:101], -v[98:99]
	;; [unrolled: 1-line block ×5, first 2 shown]
	v_add_f64 v[74:75], v[74:75], v[90:91]
	v_add_f64 v[90:91], v[98:99], -v[94:95]
	v_add_f64 v[70:71], v[70:71], -v[90:91]
	;; [unrolled: 1-line block ×5, first 2 shown]
	v_add_f64 v[76:77], v[72:73], v[100:101]
	v_add_f64 v[70:71], v[70:71], v[90:91]
	v_add_f64 v[72:73], v[76:77], -v[72:73]
	v_add_f64 v[70:71], v[70:71], v[74:75]
	v_fma_f64 v[68:69], v[20:21], v[68:69], -v[94:95]
	v_add_f64 v[72:73], v[100:101], -v[72:73]
	v_add_f64 v[68:69], v[68:69], v[70:71]
	v_ldexp_f64 v[70:71], v[92:93], 2
	v_add_f64 v[68:69], v[72:73], v[68:69]
	v_add_f64 v[72:73], v[76:77], v[70:71]
	v_mov_b32_e32 v2, 0x40100000
	v_cmp_gt_f64_e32 vcc, 0, v[72:73]
	v_mov_b32_e32 v96, 0
	v_cndmask_b32_e32 v97, 0, v2, vcc
	v_add_f64 v[70:71], v[70:71], v[96:97]
	v_add_f64 v[72:73], v[76:77], v[70:71]
	v_cvt_i32_f64_e32 v2, v[72:73]
	v_cvt_f64_i32_e32 v[72:73], v2
	v_add_f64 v[70:71], v[70:71], -v[72:73]
	v_add_f64 v[72:73], v[76:77], v[70:71]
	v_cmp_le_f64_e32 vcc, 0.5, v[72:73]
	v_add_f64 v[70:71], v[72:73], -v[70:71]
	v_addc_co_u32_e64 v90, s[8:9], 0, v2, vcc
	v_mov_b32_e32 v2, 0x3ff00000
	v_add_f64 v[70:71], v[76:77], -v[70:71]
	v_cndmask_b32_e32 v97, 0, v2, vcc
	v_add_f64 v[68:69], v[68:69], v[70:71]
	v_add_f64 v[70:71], v[72:73], -v[96:97]
	v_add_f64 v[72:73], v[70:71], v[68:69]
	s_mov_b32 s8, 0x54442d18
	v_add_f64 v[70:71], v[72:73], -v[70:71]
	s_mov_b32 s9, 0x3ff921fb
	v_add_f64 v[68:69], v[68:69], -v[70:71]
	v_mul_f64 v[70:71], v[72:73], s[8:9]
	s_mov_b32 s20, 0x33145c07
	v_fma_f64 v[74:75], v[72:73], s[8:9], -v[70:71]
	s_mov_b32 s21, 0x3c91a626
	v_fmac_f64_e32 v[74:75], s[20:21], v[72:73]
	v_fmac_f64_e32 v[74:75], s[8:9], v[68:69]
	v_add_f64 v[68:69], v[70:71], v[74:75]
	v_add_f64 v[70:71], v[68:69], -v[70:71]
	v_pk_mov_b32 v[100:101], v[4:5], v[4:5] op_sel:[0,1]
	v_add_f64 v[70:71], v[74:75], -v[70:71]
	s_andn2_saveexec_b64 s[8:9], s[18:19]
	s_cbranch_execnz .LBB1_61
.LBB1_58:
	s_or_b64 exec, exec, s[8:9]
	s_and_b64 vcc, exec, s[10:11]
	s_cbranch_vccz .LBB1_62
.LBB1_59:
	s_mov_b32 s8, 0
	s_mov_b32 s9, 0x7b000000
	s_movk_i32 s10, 0xff80
	v_and_b32_e32 v2, 0x7fffffff, v11
	v_ldexp_f64 v[72:73], |v[10:11]|, s10
	v_cmp_ge_f64_e64 vcc, |v[10:11]|, s[8:9]
	v_cndmask_b32_e32 v73, v2, v73, vcc
	v_cndmask_b32_e32 v72, v10, v72, vcc
	v_mul_f64 v[76:77], v[12:13], v[72:73]
	v_mul_f64 v[74:75], v[8:9], v[72:73]
	v_fma_f64 v[12:13], v[12:13], v[72:73], -v[76:77]
	v_add_f64 v[92:93], v[74:75], v[12:13]
	v_add_f64 v[94:95], v[76:77], v[92:93]
	s_mov_b32 s8, 0
	v_ldexp_f64 v[96:97], v[94:95], -2
	s_mov_b32 s9, 0x7ff00000
	v_fract_f64_e32 v[98:99], v[96:97]
	v_cmp_neq_f64_e64 vcc, |v[96:97]|, s[8:9]
	v_cndmask_b32_e32 v97, 0, v99, vcc
	v_cndmask_b32_e32 v96, 0, v98, vcc
	v_add_f64 v[98:99], v[92:93], -v[74:75]
	v_add_f64 v[12:13], v[12:13], -v[98:99]
	;; [unrolled: 1-line block ×4, first 2 shown]
	v_fma_f64 v[8:9], v[8:9], v[72:73], -v[74:75]
	v_mul_f64 v[74:75], v[6:7], v[72:73]
	v_add_f64 v[12:13], v[12:13], v[98:99]
	v_add_f64 v[98:99], v[74:75], v[8:9]
	v_add_f64 v[100:101], v[98:99], v[12:13]
	v_add_f64 v[76:77], v[94:95], -v[76:77]
	v_add_f64 v[94:95], v[100:101], -v[98:99]
	;; [unrolled: 1-line block ×5, first 2 shown]
	v_add_f64 v[12:13], v[12:13], v[94:95]
	v_add_f64 v[94:95], v[98:99], -v[74:75]
	v_add_f64 v[8:9], v[8:9], -v[94:95]
	;; [unrolled: 1-line block ×4, first 2 shown]
	v_add_f64 v[8:9], v[8:9], v[94:95]
	v_add_f64 v[76:77], v[92:93], -v[76:77]
	v_add_f64 v[8:9], v[8:9], v[12:13]
	v_fma_f64 v[6:7], v[6:7], v[72:73], -v[74:75]
	v_add_f64 v[92:93], v[76:77], v[100:101]
	v_add_f64 v[6:7], v[6:7], v[8:9]
	v_ldexp_f64 v[8:9], v[96:97], 2
	v_add_f64 v[12:13], v[92:93], v[8:9]
	v_cmp_gt_f64_e32 vcc, 0, v[12:13]
	s_and_b64 s[8:9], vcc, exec
	s_mov_b32 s18, 0
	s_cselect_b32 s19, 0x40100000, 0
	v_add_f64 v[8:9], v[8:9], s[18:19]
	v_add_f64 v[12:13], v[92:93], v[8:9]
	v_cvt_i32_f64_e32 v2, v[12:13]
	v_cvt_f64_i32_e32 v[12:13], v2
	v_add_f64 v[8:9], v[8:9], -v[12:13]
	v_add_f64 v[12:13], v[92:93], v[8:9]
	v_add_f64 v[76:77], v[92:93], -v[76:77]
	v_cmp_le_f64_e32 vcc, 0.5, v[12:13]
	v_add_f64 v[76:77], v[100:101], -v[76:77]
	v_add_f64 v[8:9], v[12:13], -v[8:9]
	s_and_b64 s[8:9], vcc, exec
	v_add_f64 v[6:7], v[76:77], v[6:7]
	v_add_f64 v[8:9], v[92:93], -v[8:9]
	v_addc_co_u32_e64 v91, s[8:9], 0, v2, vcc
	s_cselect_b32 s19, 0x3ff00000, 0
	v_add_f64 v[6:7], v[6:7], v[8:9]
	v_add_f64 v[8:9], v[12:13], -s[18:19]
	s_mov_b32 s8, 0x54442d18
	v_add_f64 v[12:13], v[8:9], v[6:7]
	s_mov_b32 s9, 0x3ff921fb
	v_mul_f64 v[72:73], v[12:13], s[8:9]
	s_mov_b32 s18, 0x33145c07
	v_add_f64 v[8:9], v[12:13], -v[8:9]
	v_fma_f64 v[74:75], v[12:13], s[8:9], -v[72:73]
	s_mov_b32 s19, 0x3c91a626
	v_add_f64 v[6:7], v[6:7], -v[8:9]
	v_fmac_f64_e32 v[74:75], s[18:19], v[12:13]
	v_fmac_f64_e32 v[74:75], s[8:9], v[6:7]
	v_add_f64 v[8:9], v[72:73], v[74:75]
	v_add_f64 v[6:7], v[8:9], -v[72:73]
	v_pk_mov_b32 v[100:101], v[4:5], v[4:5] op_sel:[0,1]
	v_add_f64 v[72:73], v[74:75], -v[6:7]
	s_cbranch_execz .LBB1_63
	s_branch .LBB1_64
.LBB1_60:
	s_andn2_saveexec_b64 s[8:9], s[18:19]
	s_cbranch_execz .LBB1_58
.LBB1_61:
	s_mov_b32 s18, 0x6dc9c883
	s_mov_b32 s19, 0x3fe45f30
	v_mul_f64 v[68:69], |v[100:101]|, s[18:19]
	s_mov_b32 s18, 0x54442d18
	v_rndne_f64_e32 v[72:73], v[68:69]
	s_mov_b32 s19, 0xbff921fb
	v_fma_f64 v[68:69], v[72:73], s[18:19], |v[100:101]|
	s_mov_b32 s19, 0xbc91a626
	s_mov_b32 s18, 0x33145c00
	v_mul_f64 v[74:75], v[72:73], s[18:19]
	v_add_f64 v[90:91], v[68:69], v[74:75]
	v_fma_f64 v[70:71], s[18:19], v[72:73], v[68:69]
	s_mov_b32 s19, 0x3c91a626
	v_add_f64 v[68:69], v[68:69], -v[90:91]
	v_fma_f64 v[76:77], s[18:19], v[72:73], v[74:75]
	v_add_f64 v[68:69], v[68:69], v[74:75]
	v_add_f64 v[74:75], v[90:91], -v[70:71]
	v_add_f64 v[68:69], v[74:75], v[68:69]
	s_mov_b32 s18, 0x252049c0
	v_add_f64 v[74:75], v[68:69], -v[76:77]
	s_mov_b32 s19, 0xb97b839a
	v_fmac_f64_e32 v[74:75], s[18:19], v[72:73]
	v_add_f64 v[68:69], v[70:71], v[74:75]
	v_add_f64 v[70:71], v[68:69], -v[70:71]
	v_add_f64 v[70:71], v[74:75], -v[70:71]
	v_cvt_i32_f64_e32 v90, v[72:73]
	s_or_b64 exec, exec, s[8:9]
	s_and_b64 vcc, exec, s[10:11]
	s_cbranch_vccnz .LBB1_59
.LBB1_62:
                                        ; implicit-def: $vgpr91
                                        ; implicit-def: $vgpr8_vgpr9
                                        ; implicit-def: $vgpr72_vgpr73
.LBB1_63:
	s_mov_b32 s8, 0x6dc9c883
	s_mov_b32 s9, 0x3fe45f30
	v_mul_f64 v[6:7], |v[10:11]|, s[8:9]
	s_mov_b32 s8, 0x54442d18
	v_rndne_f64_e32 v[6:7], v[6:7]
	s_mov_b32 s9, 0xbff921fb
	v_fma_f64 v[8:9], v[6:7], s[8:9], |v[10:11]|
	s_mov_b32 s9, 0xbc91a626
	s_mov_b32 s8, 0x33145c00
	v_mul_f64 v[72:73], v[6:7], s[8:9]
	v_add_f64 v[76:77], v[8:9], v[72:73]
	v_fma_f64 v[12:13], s[8:9], v[6:7], v[8:9]
	s_mov_b32 s9, 0x3c91a626
	v_add_f64 v[8:9], v[8:9], -v[76:77]
	v_fma_f64 v[74:75], s[8:9], v[6:7], v[72:73]
	v_add_f64 v[8:9], v[8:9], v[72:73]
	v_add_f64 v[72:73], v[76:77], -v[12:13]
	v_add_f64 v[8:9], v[72:73], v[8:9]
	s_mov_b32 s8, 0x252049c0
	v_add_f64 v[72:73], v[8:9], -v[74:75]
	s_mov_b32 s9, 0xb97b839a
	v_fmac_f64_e32 v[72:73], s[8:9], v[6:7]
	v_add_f64 v[8:9], v[12:13], v[72:73]
	v_add_f64 v[12:13], v[8:9], -v[12:13]
	v_add_f64 v[72:73], v[72:73], -v[12:13]
	v_cvt_i32_f64_e32 v91, v[6:7]
.LBB1_64:
                                        ; implicit-def: $vgpr10
                                        ; implicit-def: $vgpr74_vgpr75
                                        ; implicit-def: $vgpr76_vgpr77
	s_and_saveexec_b64 s[8:9], s[6:7]
	s_xor_b64 s[8:9], exec, s[8:9]
	s_cbranch_execz .LBB1_66
; %bb.65:
	s_mov_b32 s6, 0
	s_mov_b32 s7, 0x7b000000
	s_movk_i32 s10, 0xff80
	v_ldexp_f64 v[6:7], v[44:45], s10
	v_cmp_le_f64_e32 vcc, s[6:7], v[44:45]
	v_cndmask_b32_e32 v7, v45, v7, vcc
	v_cndmask_b32_e32 v6, v44, v6, vcc
	v_mul_f64 v[74:75], v[58:59], v[6:7]
	v_mul_f64 v[12:13], v[56:57], v[6:7]
	v_fma_f64 v[58:59], v[58:59], v[6:7], -v[74:75]
	v_add_f64 v[76:77], v[12:13], v[58:59]
	v_add_f64 v[92:93], v[74:75], v[76:77]
	s_mov_b32 s6, 0
	v_ldexp_f64 v[94:95], v[92:93], -2
	s_mov_b32 s7, 0x7ff00000
	v_fract_f64_e32 v[96:97], v[94:95]
	v_cmp_neq_f64_e64 vcc, |v[94:95]|, s[6:7]
	v_cndmask_b32_e32 v95, 0, v97, vcc
	v_cndmask_b32_e32 v94, 0, v96, vcc
	v_add_f64 v[96:97], v[76:77], -v[12:13]
	v_add_f64 v[58:59], v[58:59], -v[96:97]
	;; [unrolled: 1-line block ×4, first 2 shown]
	v_fma_f64 v[12:13], v[56:57], v[6:7], -v[12:13]
	v_mul_f64 v[56:57], v[54:55], v[6:7]
	v_add_f64 v[58:59], v[58:59], v[96:97]
	v_add_f64 v[96:97], v[56:57], v[12:13]
	;; [unrolled: 1-line block ×3, first 2 shown]
	v_add_f64 v[74:75], v[92:93], -v[74:75]
	v_add_f64 v[92:93], v[100:101], -v[96:97]
	;; [unrolled: 1-line block ×5, first 2 shown]
	v_add_f64 v[58:59], v[58:59], v[92:93]
	v_add_f64 v[92:93], v[96:97], -v[56:57]
	v_add_f64 v[12:13], v[12:13], -v[92:93]
	;; [unrolled: 1-line block ×4, first 2 shown]
	v_add_f64 v[12:13], v[12:13], v[92:93]
	v_add_f64 v[74:75], v[76:77], -v[74:75]
	v_add_f64 v[12:13], v[12:13], v[58:59]
	v_fma_f64 v[6:7], v[54:55], v[6:7], -v[56:57]
	v_add_f64 v[76:77], v[74:75], v[100:101]
	v_add_f64 v[6:7], v[6:7], v[12:13]
	v_ldexp_f64 v[12:13], v[94:95], 2
	v_add_f64 v[54:55], v[76:77], v[12:13]
	v_mov_b32_e32 v2, 0x40100000
	v_cmp_gt_f64_e32 vcc, 0, v[54:55]
	v_mov_b32_e32 v98, 0
	v_cndmask_b32_e32 v99, 0, v2, vcc
	v_add_f64 v[12:13], v[12:13], v[98:99]
	v_add_f64 v[54:55], v[76:77], v[12:13]
	v_cvt_i32_f64_e32 v2, v[54:55]
	v_cvt_f64_i32_e32 v[54:55], v2
	v_add_f64 v[12:13], v[12:13], -v[54:55]
	v_add_f64 v[54:55], v[76:77], v[12:13]
	v_add_f64 v[74:75], v[76:77], -v[74:75]
	v_cmp_le_f64_e32 vcc, 0.5, v[54:55]
	v_add_f64 v[74:75], v[100:101], -v[74:75]
	v_add_f64 v[12:13], v[54:55], -v[12:13]
	v_addc_co_u32_e64 v10, s[6:7], 0, v2, vcc
	v_mov_b32_e32 v2, 0x3ff00000
	v_add_f64 v[6:7], v[74:75], v[6:7]
	v_add_f64 v[12:13], v[76:77], -v[12:13]
	v_cndmask_b32_e32 v99, 0, v2, vcc
	v_add_f64 v[6:7], v[6:7], v[12:13]
	v_add_f64 v[12:13], v[54:55], -v[98:99]
	v_add_f64 v[54:55], v[12:13], v[6:7]
	s_mov_b32 s6, 0x54442d18
	v_add_f64 v[12:13], v[54:55], -v[12:13]
	s_mov_b32 s7, 0x3ff921fb
	v_add_f64 v[6:7], v[6:7], -v[12:13]
	v_mul_f64 v[12:13], v[54:55], s[6:7]
	s_mov_b32 s10, 0x33145c07
	v_fma_f64 v[56:57], v[54:55], s[6:7], -v[12:13]
	s_mov_b32 s11, 0x3c91a626
	v_fmac_f64_e32 v[56:57], s[10:11], v[54:55]
	v_fmac_f64_e32 v[56:57], s[6:7], v[6:7]
	v_add_f64 v[74:75], v[12:13], v[56:57]
	v_add_f64 v[6:7], v[74:75], -v[12:13]
	v_pk_mov_b32 v[100:101], v[4:5], v[4:5] op_sel:[0,1]
	v_add_f64 v[76:77], v[56:57], -v[6:7]
	s_andn2_saveexec_b64 s[6:7], s[8:9]
	s_cbranch_execz .LBB1_68
	s_branch .LBB1_67
.LBB1_66:
	s_andn2_saveexec_b64 s[6:7], s[8:9]
	s_cbranch_execz .LBB1_68
.LBB1_67:
	s_mov_b32 s8, 0x6dc9c883
	s_mov_b32 s9, 0x3fe45f30
	v_mul_f64 v[6:7], v[44:45], s[8:9]
	s_mov_b32 s8, 0x54442d18
	v_rndne_f64_e32 v[6:7], v[6:7]
	s_mov_b32 s9, 0xbff921fb
	v_fma_f64 v[12:13], s[8:9], v[6:7], v[44:45]
	s_mov_b32 s9, 0xbc91a626
	s_mov_b32 s8, 0x33145c00
	v_mul_f64 v[56:57], v[6:7], s[8:9]
	v_add_f64 v[74:75], v[12:13], v[56:57]
	v_fma_f64 v[54:55], s[8:9], v[6:7], v[12:13]
	s_mov_b32 s9, 0x3c91a626
	v_add_f64 v[12:13], v[12:13], -v[74:75]
	v_fma_f64 v[58:59], s[8:9], v[6:7], v[56:57]
	v_add_f64 v[12:13], v[12:13], v[56:57]
	v_add_f64 v[56:57], v[74:75], -v[54:55]
	v_add_f64 v[12:13], v[56:57], v[12:13]
	s_mov_b32 s8, 0x252049c0
	v_add_f64 v[12:13], v[12:13], -v[58:59]
	s_mov_b32 s9, 0xb97b839a
	v_fmac_f64_e32 v[12:13], s[8:9], v[6:7]
	v_add_f64 v[74:75], v[54:55], v[12:13]
	v_add_f64 v[54:55], v[74:75], -v[54:55]
	v_add_f64 v[76:77], v[12:13], -v[54:55]
	v_cvt_i32_f64_e32 v10, v[6:7]
.LBB1_68:
	s_or_b64 exec, exec, s[6:7]
                                        ; implicit-def: $vgpr92
                                        ; implicit-def: $vgpr56_vgpr57
                                        ; implicit-def: $vgpr58_vgpr59
	s_and_saveexec_b64 s[6:7], s[14:15]
	s_xor_b64 s[8:9], exec, s[6:7]
	s_cbranch_execz .LBB1_70
; %bb.69:
	s_mov_b32 s6, 0
	s_mov_b32 s7, 0x7b000000
	s_movk_i32 s10, 0xff80
	v_and_b32_e32 v2, 0x7fffffff, v101
	v_ldexp_f64 v[6:7], |v[100:101]|, s10
	v_cmp_ge_f64_e64 vcc, |v[100:101]|, s[6:7]
	v_cndmask_b32_e32 v7, v2, v7, vcc
	v_cndmask_b32_e32 v6, v100, v6, vcc
	v_mul_f64 v[54:55], v[24:25], v[6:7]
	v_mul_f64 v[12:13], v[22:23], v[6:7]
	v_fma_f64 v[56:57], v[24:25], v[6:7], -v[54:55]
	v_add_f64 v[58:59], v[12:13], v[56:57]
	v_add_f64 v[92:93], v[54:55], v[58:59]
	s_mov_b32 s6, 0
	v_ldexp_f64 v[94:95], v[92:93], -2
	s_mov_b32 s7, 0x7ff00000
	v_fract_f64_e32 v[96:97], v[94:95]
	v_cmp_neq_f64_e64 vcc, |v[94:95]|, s[6:7]
	v_cndmask_b32_e32 v95, 0, v97, vcc
	v_cndmask_b32_e32 v94, 0, v96, vcc
	v_add_f64 v[96:97], v[58:59], -v[12:13]
	v_add_f64 v[56:57], v[56:57], -v[96:97]
	;; [unrolled: 1-line block ×4, first 2 shown]
	v_add_f64 v[56:57], v[56:57], v[96:97]
	v_fma_f64 v[12:13], v[22:23], v[6:7], -v[12:13]
	v_mul_f64 v[96:97], v[20:21], v[6:7]
	v_add_f64 v[100:101], v[96:97], v[12:13]
	v_add_f64 v[102:103], v[100:101], v[56:57]
	v_add_f64 v[54:55], v[92:93], -v[54:55]
	v_add_f64 v[92:93], v[102:103], -v[100:101]
	v_add_f64 v[56:57], v[56:57], -v[92:93]
	v_add_f64 v[92:93], v[102:103], -v[92:93]
	v_add_f64 v[92:93], v[100:101], -v[92:93]
	v_add_f64 v[56:57], v[56:57], v[92:93]
	v_add_f64 v[92:93], v[100:101], -v[96:97]
	v_add_f64 v[12:13], v[12:13], -v[92:93]
	;; [unrolled: 1-line block ×5, first 2 shown]
	v_add_f64 v[58:59], v[54:55], v[102:103]
	v_add_f64 v[12:13], v[12:13], v[92:93]
	v_add_f64 v[54:55], v[58:59], -v[54:55]
	v_add_f64 v[12:13], v[12:13], v[56:57]
	v_fma_f64 v[6:7], v[20:21], v[6:7], -v[96:97]
	v_add_f64 v[54:55], v[102:103], -v[54:55]
	v_add_f64 v[6:7], v[6:7], v[12:13]
	v_ldexp_f64 v[12:13], v[94:95], 2
	v_add_f64 v[6:7], v[54:55], v[6:7]
	v_add_f64 v[54:55], v[58:59], v[12:13]
	v_mov_b32_e32 v2, 0x40100000
	v_cmp_gt_f64_e32 vcc, 0, v[54:55]
	v_mov_b32_e32 v98, 0
	v_cndmask_b32_e32 v99, 0, v2, vcc
	v_add_f64 v[12:13], v[12:13], v[98:99]
	v_add_f64 v[54:55], v[58:59], v[12:13]
	v_cvt_i32_f64_e32 v2, v[54:55]
	v_cvt_f64_i32_e32 v[54:55], v2
	v_add_f64 v[12:13], v[12:13], -v[54:55]
	v_add_f64 v[54:55], v[58:59], v[12:13]
	v_cmp_le_f64_e32 vcc, 0.5, v[54:55]
	v_add_f64 v[12:13], v[54:55], -v[12:13]
	v_addc_co_u32_e64 v92, s[6:7], 0, v2, vcc
	v_mov_b32_e32 v2, 0x3ff00000
	v_add_f64 v[12:13], v[58:59], -v[12:13]
	v_cndmask_b32_e32 v99, 0, v2, vcc
	v_add_f64 v[6:7], v[6:7], v[12:13]
	v_add_f64 v[12:13], v[54:55], -v[98:99]
	v_add_f64 v[54:55], v[12:13], v[6:7]
	s_mov_b32 s6, 0x54442d18
	v_add_f64 v[12:13], v[54:55], -v[12:13]
	s_mov_b32 s7, 0x3ff921fb
	v_add_f64 v[6:7], v[6:7], -v[12:13]
	v_mul_f64 v[12:13], v[54:55], s[6:7]
	s_mov_b32 s10, 0x33145c07
	v_fma_f64 v[58:59], v[54:55], s[6:7], -v[12:13]
	s_mov_b32 s11, 0x3c91a626
	v_fmac_f64_e32 v[58:59], s[10:11], v[54:55]
	v_fmac_f64_e32 v[58:59], s[6:7], v[6:7]
	v_add_f64 v[56:57], v[12:13], v[58:59]
	v_add_f64 v[6:7], v[56:57], -v[12:13]
	v_pk_mov_b32 v[100:101], v[4:5], v[4:5] op_sel:[0,1]
	v_add_f64 v[58:59], v[58:59], -v[6:7]
	s_andn2_saveexec_b64 s[6:7], s[8:9]
	s_cbranch_execnz .LBB1_71
	s_branch .LBB1_72
.LBB1_70:
	s_andn2_saveexec_b64 s[6:7], s[8:9]
	s_cbranch_execz .LBB1_72
.LBB1_71:
	s_mov_b32 s8, 0x6dc9c883
	s_mov_b32 s9, 0x3fe45f30
	v_mul_f64 v[6:7], |v[100:101]|, s[8:9]
	s_mov_b32 s8, 0x54442d18
	v_rndne_f64_e32 v[6:7], v[6:7]
	s_mov_b32 s9, 0xbff921fb
	v_fma_f64 v[12:13], v[6:7], s[8:9], |v[100:101]|
	s_mov_b32 s9, 0xbc91a626
	s_mov_b32 s8, 0x33145c00
	v_mul_f64 v[56:57], v[6:7], s[8:9]
	v_add_f64 v[92:93], v[12:13], v[56:57]
	v_fma_f64 v[54:55], s[8:9], v[6:7], v[12:13]
	s_mov_b32 s9, 0x3c91a626
	v_add_f64 v[12:13], v[12:13], -v[92:93]
	v_fma_f64 v[58:59], s[8:9], v[6:7], v[56:57]
	v_add_f64 v[12:13], v[12:13], v[56:57]
	v_add_f64 v[56:57], v[92:93], -v[54:55]
	v_add_f64 v[12:13], v[56:57], v[12:13]
	s_mov_b32 s8, 0x252049c0
	v_add_f64 v[12:13], v[12:13], -v[58:59]
	s_mov_b32 s9, 0xb97b839a
	v_fmac_f64_e32 v[12:13], s[8:9], v[6:7]
	v_add_f64 v[56:57], v[54:55], v[12:13]
	v_add_f64 v[54:55], v[56:57], -v[54:55]
	v_add_f64 v[58:59], v[12:13], -v[54:55]
	v_cvt_i32_f64_e32 v92, v[6:7]
.LBB1_72:
	s_or_b64 exec, exec, s[6:7]
	s_load_dwordx2 s[4:5], s[4:5], 0x0
                                        ; implicit-def: $vgpr87
                                        ; implicit-def: $vgpr12_vgpr13
                                        ; implicit-def: $vgpr54_vgpr55
	s_waitcnt lgkmcnt(0)
	v_writelane_b32 v127, s4, 2
	v_writelane_b32 v127, s5, 3
	s_and_saveexec_b64 s[4:5], s[14:15]
	s_xor_b64 s[6:7], exec, s[4:5]
	s_cbranch_execz .LBB1_74
; %bb.73:
	s_mov_b32 s4, 0
	s_mov_b32 s5, 0x7b000000
	s_movk_i32 s8, 0xff80
	v_and_b32_e32 v2, 0x7fffffff, v101
	v_ldexp_f64 v[6:7], |v[100:101]|, s8
	v_cmp_ge_f64_e64 vcc, |v[100:101]|, s[4:5]
	v_cndmask_b32_e32 v7, v2, v7, vcc
	v_cndmask_b32_e32 v6, v100, v6, vcc
	v_mul_f64 v[54:55], v[24:25], v[6:7]
	v_mul_f64 v[12:13], v[22:23], v[6:7]
	v_fma_f64 v[24:25], v[24:25], v[6:7], -v[54:55]
	v_add_f64 v[94:95], v[12:13], v[24:25]
	v_add_f64 v[96:97], v[54:55], v[94:95]
	s_mov_b32 s4, 0
	v_ldexp_f64 v[98:99], v[96:97], -2
	s_mov_b32 s5, 0x7ff00000
	v_fract_f64_e32 v[100:101], v[98:99]
	v_cmp_neq_f64_e64 vcc, |v[98:99]|, s[4:5]
	v_cndmask_b32_e32 v99, 0, v101, vcc
	v_cndmask_b32_e32 v98, 0, v100, vcc
	v_add_f64 v[100:101], v[94:95], -v[12:13]
	v_add_f64 v[24:25], v[24:25], -v[100:101]
	v_add_f64 v[100:101], v[94:95], -v[100:101]
	v_add_f64 v[100:101], v[12:13], -v[100:101]
	v_fma_f64 v[12:13], v[22:23], v[6:7], -v[12:13]
	v_mul_f64 v[22:23], v[20:21], v[6:7]
	v_add_f64 v[24:25], v[24:25], v[100:101]
	v_add_f64 v[100:101], v[22:23], v[12:13]
	v_add_f64 v[104:105], v[100:101], v[24:25]
	v_add_f64 v[54:55], v[96:97], -v[54:55]
	v_add_f64 v[96:97], v[104:105], -v[100:101]
	;; [unrolled: 1-line block ×5, first 2 shown]
	v_add_f64 v[24:25], v[24:25], v[96:97]
	v_add_f64 v[96:97], v[100:101], -v[22:23]
	v_add_f64 v[12:13], v[12:13], -v[96:97]
	;; [unrolled: 1-line block ×4, first 2 shown]
	v_add_f64 v[12:13], v[12:13], v[96:97]
	v_add_f64 v[54:55], v[94:95], -v[54:55]
	v_add_f64 v[12:13], v[12:13], v[24:25]
	v_fma_f64 v[6:7], v[20:21], v[6:7], -v[22:23]
	v_add_f64 v[94:95], v[54:55], v[104:105]
	v_add_f64 v[6:7], v[6:7], v[12:13]
	v_ldexp_f64 v[12:13], v[98:99], 2
	v_add_f64 v[20:21], v[94:95], v[12:13]
	v_mov_b32_e32 v2, 0x40100000
	v_cmp_gt_f64_e32 vcc, 0, v[20:21]
	v_mov_b32_e32 v102, 0
	v_cndmask_b32_e32 v103, 0, v2, vcc
	v_add_f64 v[12:13], v[12:13], v[102:103]
	v_add_f64 v[20:21], v[94:95], v[12:13]
	v_cvt_i32_f64_e32 v2, v[20:21]
	v_cvt_f64_i32_e32 v[20:21], v2
	v_add_f64 v[12:13], v[12:13], -v[20:21]
	v_add_f64 v[20:21], v[94:95], v[12:13]
	v_add_f64 v[54:55], v[94:95], -v[54:55]
	v_cmp_le_f64_e32 vcc, 0.5, v[20:21]
	v_add_f64 v[54:55], v[104:105], -v[54:55]
	v_add_f64 v[12:13], v[20:21], -v[12:13]
	v_addc_co_u32_e64 v87, s[4:5], 0, v2, vcc
	v_mov_b32_e32 v2, 0x3ff00000
	v_add_f64 v[6:7], v[54:55], v[6:7]
	v_add_f64 v[12:13], v[94:95], -v[12:13]
	v_cndmask_b32_e32 v103, 0, v2, vcc
	v_add_f64 v[6:7], v[6:7], v[12:13]
	v_add_f64 v[12:13], v[20:21], -v[102:103]
	s_mov_b32 s4, 0x54442d18
	v_add_f64 v[20:21], v[12:13], v[6:7]
	s_mov_b32 s5, 0x3ff921fb
	v_mul_f64 v[22:23], v[20:21], s[4:5]
	s_mov_b32 s8, 0x33145c07
	v_add_f64 v[12:13], v[20:21], -v[12:13]
	v_fma_f64 v[24:25], v[20:21], s[4:5], -v[22:23]
	s_mov_b32 s9, 0x3c91a626
	v_add_f64 v[6:7], v[6:7], -v[12:13]
	v_fmac_f64_e32 v[24:25], s[8:9], v[20:21]
	v_fmac_f64_e32 v[24:25], s[4:5], v[6:7]
	v_add_f64 v[12:13], v[22:23], v[24:25]
	v_add_f64 v[6:7], v[12:13], -v[22:23]
	v_pk_mov_b32 v[100:101], v[4:5], v[4:5] op_sel:[0,1]
	v_add_f64 v[54:55], v[24:25], -v[6:7]
.LBB1_74:
	s_or_saveexec_b64 s[4:5], s[6:7]
	v_mul_f64 v[6:7], s[12:13], s[12:13]
	s_xor_b64 exec, exec, s[4:5]
	s_cbranch_execz .LBB1_76
; %bb.75:
	s_mov_b32 s6, 0x6dc9c883
	s_mov_b32 s7, 0x3fe45f30
	v_mul_f64 v[12:13], |v[100:101]|, s[6:7]
	s_mov_b32 s6, 0x54442d18
	v_rndne_f64_e32 v[20:21], v[12:13]
	s_mov_b32 s7, 0xbff921fb
	v_fma_f64 v[12:13], v[20:21], s[6:7], |v[100:101]|
	s_mov_b32 s7, 0xbc91a626
	s_mov_b32 s6, 0x33145c00
	v_mul_f64 v[24:25], v[20:21], s[6:7]
	v_add_f64 v[94:95], v[12:13], v[24:25]
	v_fma_f64 v[22:23], s[6:7], v[20:21], v[12:13]
	s_mov_b32 s7, 0x3c91a626
	v_add_f64 v[12:13], v[12:13], -v[94:95]
	v_fma_f64 v[54:55], s[6:7], v[20:21], v[24:25]
	v_add_f64 v[12:13], v[12:13], v[24:25]
	v_add_f64 v[24:25], v[94:95], -v[22:23]
	v_add_f64 v[12:13], v[24:25], v[12:13]
	s_mov_b32 s6, 0x252049c0
	v_add_f64 v[24:25], v[12:13], -v[54:55]
	s_mov_b32 s7, 0xb97b839a
	v_fmac_f64_e32 v[24:25], s[6:7], v[20:21]
	v_add_f64 v[12:13], v[22:23], v[24:25]
	v_add_f64 v[22:23], v[12:13], -v[22:23]
	v_add_f64 v[54:55], v[24:25], -v[22:23]
	v_cvt_i32_f64_e32 v87, v[20:21]
.LBB1_76:
	s_or_b64 exec, exec, s[4:5]
	s_load_dwordx2 s[4:5], s[16:17], 0x18
	v_mul_f64 v[24:25], v[8:9], v[8:9]
	v_mul_f64 v[20:21], v[24:25], 0.5
	v_add_f64 v[22:23], -v[20:21], 1.0
	v_add_f64 v[94:95], -v[22:23], 1.0
	s_waitcnt lgkmcnt(0)
	v_writelane_b32 v127, s4, 4
	v_writelane_b32 v127, s5, 5
	s_mov_b32 s4, 0x9037ab78
	s_mov_b32 s5, 0x3e21eeb6
	;; [unrolled: 1-line block ×3, first 2 shown]
	v_add_f64 v[94:95], v[94:95], -v[20:21]
	s_mov_b32 s23, 0xbda907db
	v_pk_mov_b32 v[20:21], s[4:5], s[4:5] op_sel:[0,1]
	s_mov_b32 s24, 0xa17f65f6
	v_fma_f64 v[98:99], s[22:23], v[24:25], v[20:21]
	s_mov_b32 s25, 0xbe927e4f
	s_mov_b32 s26, 0x19f4ec90
	v_fma_f64 v[98:99], v[24:25], v[98:99], s[24:25]
	s_mov_b32 s27, 0x3efa01a0
	;; [unrolled: 3-line block ×4, first 2 shown]
	v_mul_f64 v[96:97], v[24:25], v[24:25]
	v_fma_f64 v[98:99], v[24:25], v[98:99], s[30:31]
	v_fma_f64 v[94:95], v[8:9], -v[72:73], v[94:95]
	s_mov_b32 s4, 0xb42fdfa7
	v_fmac_f64_e32 v[94:95], v[96:97], v[98:99]
	s_mov_b32 s5, 0xbe5ae600
	s_mov_b32 s38, 0xf9a43bb8
	v_add_f64 v[94:95], v[22:23], v[94:95]
	s_mov_b32 s39, 0x3de5e0b2
	v_pk_mov_b32 v[22:23], s[4:5], s[4:5] op_sel:[0,1]
	s_mov_b32 s40, 0x796cde01
	v_fma_f64 v[96:97], s[38:39], v[24:25], v[22:23]
	s_mov_b32 s41, 0x3ec71de3
	s_mov_b32 s42, 0x19e83e5c
	v_fma_f64 v[96:97], v[24:25], v[96:97], s[40:41]
	s_mov_b32 s43, 0xbf2a01a0
	;; [unrolled: 3-line block ×3, first 2 shown]
	v_fma_f64 v[96:97], v[24:25], v[96:97], s[44:45]
	v_mul_f64 v[98:99], v[8:9], -v[24:25]
	v_mul_f64 v[100:101], v[72:73], 0.5
	s_mov_b32 s34, 0x55555555
	v_fmac_f64_e32 v[100:101], v[98:99], v[96:97]
	s_mov_b32 s35, 0xbfc55555
	v_fma_f64 v[24:25], v[24:25], v[100:101], -v[72:73]
	v_fmac_f64_e32 v[24:25], s[34:35], v[98:99]
	v_add_f64 v[8:9], v[8:9], -v[24:25]
	v_and_b32_e32 v2, 1, v91
	v_mul_f64 v[24:25], v[74:75], v[74:75]
	v_cmp_eq_u32_e32 vcc, 0, v2
	v_mul_f64 v[72:73], v[24:25], 0.5
	v_fma_f64 v[98:99], s[22:23], v[24:25], v[20:21]
	v_cndmask_b32_e32 v2, v94, v8, vcc
	v_cndmask_b32_e32 v3, v95, v9, vcc
	v_add_f64 v[94:95], -v[72:73], 1.0
	v_fma_f64 v[98:99], v[24:25], v[98:99], s[24:25]
	v_add_f64 v[96:97], -v[94:95], 1.0
	v_fma_f64 v[98:99], v[24:25], v[98:99], s[26:27]
	v_add_f64 v[72:73], v[96:97], -v[72:73]
	v_fma_f64 v[98:99], v[24:25], v[98:99], s[28:29]
	v_mul_f64 v[96:97], v[24:25], v[24:25]
	v_fma_f64 v[98:99], v[24:25], v[98:99], s[30:31]
	v_fma_f64 v[72:73], v[74:75], -v[76:77], v[72:73]
	v_fmac_f64_e32 v[72:73], v[96:97], v[98:99]
	v_add_f64 v[72:73], v[94:95], v[72:73]
	v_fma_f64 v[94:95], s[38:39], v[24:25], v[22:23]
	v_fma_f64 v[94:95], v[24:25], v[94:95], s[40:41]
	;; [unrolled: 1-line block ×4, first 2 shown]
	v_mul_f64 v[96:97], v[74:75], -v[24:25]
	v_mul_f64 v[98:99], v[76:77], 0.5
	v_pk_mov_b32 v[102:103], v[4:5], v[4:5] op_sel:[0,1]
	v_lshlrev_b32_e32 v4, 30, v91
	v_mov_b32_e32 v120, 0x7ff80000
	v_fmac_f64_e32 v[98:99], v[96:97], v[94:95]
	v_xor_b32_e32 v4, v4, v11
	v_cndmask_b32_e64 v8, 0, v2, s[0:1]
	v_cndmask_b32_e64 v2, v39, v120, s[2:3]
	s_brev_b32 s52, -2
	v_fma_f64 v[24:25], v[24:25], v[98:99], -v[76:77]
	v_and_b32_e32 v4, 0x80000000, v4
	v_bfi_b32 v5, s52, v2, v35
	v_fmac_f64_e32 v[24:25], s[34:35], v[96:97]
	v_and_b32_e32 v2, 1, v10
	v_xor_b32_e32 v3, v3, v4
	v_add_f64 v[24:25], v[74:75], -v[24:25]
	v_cmp_eq_u32_e32 vcc, 0, v2
	v_lshlrev_b32_e32 v4, 30, v10
	s_mov_b32 s4, 0
	v_cndmask_b32_e64 v9, v120, v3, s[0:1]
	v_cndmask_b32_e32 v2, v72, v24, vcc
	v_cndmask_b32_e32 v3, v73, v25, vcc
	v_xor_b32_e32 v4, v4, v5
	v_fma_f64 v[24:25], v[118:119], v[118:119], v[6:7]
	s_brev_b32 s5, 8
	v_and_b32_e32 v4, 0x80000000, v4
	v_cmp_gt_f64_e32 vcc, s[4:5], v[24:25]
	v_xor_b32_e32 v3, v3, v4
	v_cndmask_b32_e64 v4, 0, 1, vcc
	v_lshlrev_b32_e32 v4, 8, v4
	v_ldexp_f64 v[24:25], v[24:25], v4
	s_mov_b32 s46, 0
	v_rsq_f64_e32 v[72:73], v[24:25]
	s_mov_b32 s47, 0x7ff00000
	v_cmp_lg_f64_e64 s[6:7], s[46:47], v[44:45]
	v_cndmask_b32_e64 v44, 0, v2, s[6:7]
	v_cndmask_b32_e64 v45, v120, v3, s[6:7]
	v_mul_f64 v[44:45], -v[8:9], v[44:45]
	v_mul_f64 v[8:9], v[24:25], v[72:73]
	v_mul_f64 v[72:73], v[72:73], 0.5
	v_fma_f64 v[74:75], -v[72:73], v[8:9], 0.5
	v_fmac_f64_e32 v[8:9], v[8:9], v[74:75]
	v_fma_f64 v[76:77], -v[8:9], v[8:9], v[24:25]
	v_fmac_f64_e32 v[72:73], v[72:73], v[74:75]
	v_fmac_f64_e32 v[8:9], v[76:77], v[72:73]
	v_fma_f64 v[74:75], -v[8:9], v[8:9], v[24:25]
	v_mov_b32_e32 v91, 0xffffff80
	v_fmac_f64_e32 v[8:9], v[74:75], v[72:73]
	v_cndmask_b32_e32 v2, 0, v91, vcc
	v_mov_b32_e32 v100, 0x260
	v_ldexp_f64 v[8:9], v[8:9], v2
	v_cmp_class_f64_e32 vcc, v[24:25], v100
	v_cndmask_b32_e32 v9, v9, v25, vcc
	v_cndmask_b32_e32 v8, v8, v24, vcc
	v_mul_f64 v[24:25], v[56:57], v[56:57]
	v_mul_f64 v[72:73], v[24:25], 0.5
	v_fma_f64 v[94:95], s[22:23], v[24:25], v[20:21]
	v_add_f64 v[74:75], -v[72:73], 1.0
	v_fma_f64 v[94:95], v[24:25], v[94:95], s[24:25]
	v_add_f64 v[76:77], -v[74:75], 1.0
	v_fma_f64 v[94:95], v[24:25], v[94:95], s[26:27]
	v_add_f64 v[72:73], v[76:77], -v[72:73]
	v_fma_f64 v[94:95], v[24:25], v[94:95], s[28:29]
	v_mul_f64 v[76:77], v[24:25], v[24:25]
	v_fma_f64 v[94:95], v[24:25], v[94:95], s[30:31]
	v_fma_f64 v[72:73], v[56:57], -v[58:59], v[72:73]
	v_fmac_f64_e32 v[72:73], v[76:77], v[94:95]
	v_add_f64 v[72:73], v[74:75], v[72:73]
	v_fma_f64 v[74:75], s[38:39], v[24:25], v[22:23]
	v_fma_f64 v[74:75], v[24:25], v[74:75], s[40:41]
	;; [unrolled: 1-line block ×4, first 2 shown]
	v_mul_f64 v[76:77], v[56:57], -v[24:25]
	v_mul_f64 v[94:95], v[58:59], 0.5
	v_fmac_f64_e32 v[94:95], v[76:77], v[74:75]
	v_fma_f64 v[24:25], v[24:25], v[94:95], -v[58:59]
	v_fmac_f64_e32 v[24:25], s[34:35], v[76:77]
	v_mul_f64 v[76:77], v[60:61], v[60:61]
	v_and_b32_e32 v2, 1, v92
	v_lshlrev_b32_e32 v4, 30, v92
	v_mul_f64 v[92:93], v[76:77], 0.5
	v_fma_f64 v[98:99], s[22:23], v[76:77], v[20:21]
	v_add_f64 v[94:95], -v[92:93], 1.0
	v_fma_f64 v[98:99], v[76:77], v[98:99], s[24:25]
	v_add_f64 v[96:97], -v[94:95], 1.0
	v_fma_f64 v[98:99], v[76:77], v[98:99], s[26:27]
	v_add_f64 v[92:93], v[96:97], -v[92:93]
	v_fma_f64 v[98:99], v[76:77], v[98:99], s[28:29]
	v_mul_f64 v[96:97], v[76:77], v[76:77]
	v_fma_f64 v[98:99], v[76:77], v[98:99], s[30:31]
	v_fma_f64 v[92:93], v[60:61], -v[62:63], v[92:93]
	v_fmac_f64_e32 v[92:93], v[96:97], v[98:99]
	v_add_f64 v[92:93], v[94:95], v[92:93]
	v_fma_f64 v[94:95], s[38:39], v[76:77], v[22:23]
	v_fma_f64 v[94:95], v[76:77], v[94:95], s[40:41]
	;; [unrolled: 1-line block ×4, first 2 shown]
	v_mul_f64 v[96:97], v[60:61], -v[76:77]
	v_mul_f64 v[98:99], v[62:63], 0.5
	v_add_f64 v[24:25], v[56:57], -v[24:25]
	v_cmp_eq_u32_e32 vcc, 0, v2
	v_xor_b32_e32 v4, v4, v103
	v_fmac_f64_e32 v[98:99], v[96:97], v[94:95]
	s_movk_i32 s33, 0x1f8
	v_cndmask_b32_e32 v3, v73, v25, vcc
	v_and_b32_e32 v4, 0x80000000, v4
	v_fma_f64 v[62:63], v[76:77], v[98:99], -v[62:63]
	v_xor_b32_e32 v3, v3, v4
	v_cmp_class_f64_e64 s[4:5], v[102:103], s33
	v_fmac_f64_e32 v[62:63], s[34:35], v[96:97]
	v_cndmask_b32_e32 v2, v72, v24, vcc
	v_cndmask_b32_e64 v25, v120, v3, s[4:5]
	v_add_f64 v[60:61], v[60:61], -v[62:63]
	v_and_b32_e32 v3, 1, v88
	v_mul_f64 v[62:63], v[26:27], v[26:27]
	v_cndmask_b32_e64 v24, 0, v2, s[4:5]
	v_cndmask_b32_e64 v4, v38, 0, s[2:3]
	v_xor_b32_e32 v2, 0x80000000, v61
	v_cmp_eq_u32_e64 s[2:3], 0, v3
	v_mul_f64 v[76:77], v[62:63], 0.5
	v_fma_f64 v[96:97], s[22:23], v[62:63], v[20:21]
	v_cndmask_b32_e64 v3, v60, v92, s[2:3]
	v_cndmask_b32_e64 v2, v2, v93, s[2:3]
	v_add_f64 v[92:93], -v[76:77], 1.0
	v_fma_f64 v[96:97], v[62:63], v[96:97], s[24:25]
	v_add_f64 v[94:95], -v[92:93], 1.0
	v_fma_f64 v[96:97], v[62:63], v[96:97], s[26:27]
	v_add_f64 v[76:77], v[94:95], -v[76:77]
	v_fma_f64 v[96:97], v[62:63], v[96:97], s[28:29]
	v_mul_f64 v[94:95], v[62:63], v[62:63]
	v_fma_f64 v[96:97], v[62:63], v[96:97], s[30:31]
	v_fma_f64 v[76:77], v[26:27], -v[28:29], v[76:77]
	v_fmac_f64_e32 v[76:77], v[94:95], v[96:97]
	v_add_f64 v[76:77], v[92:93], v[76:77]
	v_fma_f64 v[92:93], s[38:39], v[62:63], v[22:23]
	v_fma_f64 v[92:93], v[62:63], v[92:93], s[40:41]
	buffer_store_dword v4, off, s[96:99], 0 offset:192 ; 4-byte Folded Spill
	s_nop 0
	buffer_store_dword v5, off, s[96:99], 0 offset:196 ; 4-byte Folded Spill
	v_fma_f64 v[92:93], v[62:63], v[92:93], s[42:43]
	v_lshlrev_b32_e32 v4, 30, v88
	v_fma_f64 v[92:93], v[62:63], v[92:93], s[44:45]
	v_mul_f64 v[94:95], v[26:27], -v[62:63]
	v_mul_f64 v[96:97], v[28:29], 0.5
	v_and_b32_e32 v4, 0x80000000, v4
	v_fmac_f64_e32 v[96:97], v[94:95], v[92:93]
	v_xor_b32_e32 v2, v2, v4
	v_fma_f64 v[28:29], v[62:63], v[96:97], -v[28:29]
	v_cndmask_b32_e64 v61, v120, v2, s[0:1]
	v_fmac_f64_e32 v[28:29], s[34:35], v[94:95]
	v_and_b32_e32 v2, 1, v82
	v_add_f64 v[26:27], v[26:27], -v[28:29]
	v_cmp_eq_u32_e64 s[2:3], 0, v2
	v_cndmask_b32_e64 v60, 0, v3, s[0:1]
	v_cndmask_b32_e64 v2, v76, v26, s[2:3]
	;; [unrolled: 1-line block ×3, first 2 shown]
	v_mul_f64 v[26:27], v[40:41], v[40:41]
	v_mul_f64 v[28:29], v[26:27], 0.5
	v_fma_f64 v[92:93], s[22:23], v[26:27], v[20:21]
	v_add_f64 v[62:63], -v[28:29], 1.0
	v_fma_f64 v[92:93], v[26:27], v[92:93], s[24:25]
	v_add_f64 v[76:77], -v[62:63], 1.0
	v_fma_f64 v[92:93], v[26:27], v[92:93], s[26:27]
	v_add_f64 v[28:29], v[76:77], -v[28:29]
	v_fma_f64 v[92:93], v[26:27], v[92:93], s[28:29]
	v_mul_f64 v[76:77], v[26:27], v[26:27]
	v_fma_f64 v[92:93], v[26:27], v[92:93], s[30:31]
	v_fma_f64 v[28:29], v[40:41], -v[42:43], v[28:29]
	v_fmac_f64_e32 v[28:29], v[76:77], v[92:93]
	v_add_f64 v[28:29], v[62:63], v[28:29]
	v_fma_f64 v[62:63], s[38:39], v[26:27], v[22:23]
	v_fma_f64 v[62:63], v[26:27], v[62:63], s[40:41]
	;; [unrolled: 1-line block ×3, first 2 shown]
	v_lshlrev_b32_e32 v4, 30, v82
	v_fma_f64 v[62:63], v[26:27], v[62:63], s[44:45]
	v_mul_f64 v[76:77], v[40:41], -v[26:27]
	v_mul_f64 v[92:93], v[42:43], 0.5
	v_xor_b32_e32 v4, v4, v11
	v_fmac_f64_e32 v[92:93], v[76:77], v[62:63]
	v_and_b32_e32 v4, 0x80000000, v4
	v_fma_f64 v[26:27], v[26:27], v[92:93], -v[42:43]
	v_xor_b32_e32 v3, v3, v4
	v_fmac_f64_e32 v[26:27], s[34:35], v[76:77]
	v_cndmask_b32_e64 v11, v120, v3, s[0:1]
	v_add_f64 v[26:27], v[40:41], -v[26:27]
	v_and_b32_e32 v3, 1, v84
	v_cndmask_b32_e64 v10, 0, v2, s[0:1]
	v_xor_b32_e32 v2, 0x80000000, v27
	v_cmp_eq_u32_e64 s[2:3], 0, v3
	v_lshlrev_b32_e32 v4, 30, v84
	v_cndmask_b32_e64 v2, v2, v29, s[2:3]
	v_and_b32_e32 v4, 0x80000000, v4
	v_cndmask_b32_e64 v3, v26, v28, s[2:3]
	v_xor_b32_e32 v2, v2, v4
	v_cndmask_b32_e64 v26, 0, v3, s[6:7]
	v_cndmask_b32_e64 v27, v120, v2, s[6:7]
	v_mul_f64 v[26:27], -v[10:11], v[26:27]
	v_mul_f64 v[10:11], v[64:65], v[64:65]
	v_mul_f64 v[28:29], v[10:11], 0.5
	v_fma_f64 v[62:63], s[22:23], v[10:11], v[20:21]
	v_add_f64 v[40:41], -v[28:29], 1.0
	v_fma_f64 v[62:63], v[10:11], v[62:63], s[24:25]
	v_add_f64 v[42:43], -v[40:41], 1.0
	v_fma_f64 v[62:63], v[10:11], v[62:63], s[26:27]
	v_add_f64 v[28:29], v[42:43], -v[28:29]
	v_fma_f64 v[62:63], v[10:11], v[62:63], s[28:29]
	v_mul_f64 v[42:43], v[10:11], v[10:11]
	v_fma_f64 v[62:63], v[10:11], v[62:63], s[30:31]
	v_fma_f64 v[28:29], v[64:65], -v[66:67], v[28:29]
	v_fmac_f64_e32 v[28:29], v[42:43], v[62:63]
	v_add_f64 v[28:29], v[40:41], v[28:29]
	v_fma_f64 v[40:41], s[38:39], v[10:11], v[22:23]
	v_fma_f64 v[40:41], v[10:11], v[40:41], s[40:41]
	;; [unrolled: 1-line block ×4, first 2 shown]
	v_mul_f64 v[42:43], v[64:65], -v[10:11]
	v_mul_f64 v[62:63], v[66:67], 0.5
	v_fmac_f64_e32 v[62:63], v[42:43], v[40:41]
	v_fma_f64 v[10:11], v[10:11], v[62:63], -v[66:67]
	v_mul_f64 v[40:41], v[0:1], v[0:1]
	v_fmac_f64_e32 v[10:11], s[34:35], v[42:43]
	v_mul_f64 v[42:43], v[40:41], 0.5
	v_fma_f64 v[66:67], s[22:23], v[40:41], v[20:21]
	v_add_f64 v[62:63], -v[42:43], 1.0
	v_fma_f64 v[66:67], v[40:41], v[66:67], s[24:25]
	v_add_f64 v[10:11], v[64:65], -v[10:11]
	v_add_f64 v[64:65], -v[62:63], 1.0
	v_fma_f64 v[66:67], v[40:41], v[66:67], s[26:27]
	v_add_f64 v[42:43], v[64:65], -v[42:43]
	v_fma_f64 v[66:67], v[40:41], v[66:67], s[28:29]
	v_mul_f64 v[64:65], v[40:41], v[40:41]
	v_fma_f64 v[66:67], v[40:41], v[66:67], s[30:31]
	v_fma_f64 v[42:43], v[0:1], -v[14:15], v[42:43]
	v_fmac_f64_e32 v[42:43], v[64:65], v[66:67]
	v_add_f64 v[42:43], v[62:63], v[42:43]
	v_fma_f64 v[62:63], s[38:39], v[40:41], v[22:23]
	v_fma_f64 v[62:63], v[40:41], v[62:63], s[40:41]
	;; [unrolled: 1-line block ×4, first 2 shown]
	v_mul_f64 v[64:65], v[0:1], -v[40:41]
	v_mul_f64 v[66:67], v[14:15], 0.5
	v_and_b32_e32 v2, 1, v89
	v_fmac_f64_e32 v[66:67], v[64:65], v[62:63]
	v_cmp_eq_u32_e64 s[2:3], 0, v2
	v_fma_f64 v[14:15], v[40:41], v[66:67], -v[14:15]
	v_cndmask_b32_e64 v2, v28, v10, s[2:3]
	v_fmac_f64_e32 v[14:15], s[34:35], v[64:65]
	v_cndmask_b32_e64 v28, 0, v2, s[4:5]
	v_add_f64 v[0:1], v[0:1], -v[14:15]
	v_and_b32_e32 v2, 1, v80
	v_mul_f64 v[14:15], v[16:17], v[16:17]
	v_cndmask_b32_e64 v3, v29, v11, s[2:3]
	v_xor_b32_e32 v1, 0x80000000, v1
	v_cmp_eq_u32_e64 s[2:3], 0, v2
	v_mul_f64 v[40:41], v[14:15], 0.5
	v_fma_f64 v[64:65], s[22:23], v[14:15], v[20:21]
	v_cndmask_b32_e64 v0, v0, v42, s[2:3]
	v_cndmask_b32_e64 v1, v1, v43, s[2:3]
	v_add_f64 v[42:43], -v[40:41], 1.0
	v_fma_f64 v[64:65], v[14:15], v[64:65], s[24:25]
	v_add_f64 v[62:63], -v[42:43], 1.0
	v_fma_f64 v[64:65], v[14:15], v[64:65], s[26:27]
	v_add_f64 v[40:41], v[62:63], -v[40:41]
	v_fma_f64 v[64:65], v[14:15], v[64:65], s[28:29]
	v_mul_f64 v[62:63], v[14:15], v[14:15]
	v_fma_f64 v[64:65], v[14:15], v[64:65], s[30:31]
	v_fma_f64 v[40:41], v[16:17], -v[18:19], v[40:41]
	v_fmac_f64_e32 v[40:41], v[62:63], v[64:65]
	v_add_f64 v[40:41], v[42:43], v[40:41]
	v_fma_f64 v[42:43], s[38:39], v[14:15], v[22:23]
	v_fma_f64 v[42:43], v[14:15], v[42:43], s[40:41]
	v_fma_f64 v[42:43], v[14:15], v[42:43], s[42:43]
	v_lshlrev_b32_e32 v4, 30, v89
	v_fma_f64 v[42:43], v[14:15], v[42:43], s[44:45]
	v_mul_f64 v[62:63], v[16:17], -v[14:15]
	v_mul_f64 v[64:65], v[18:19], 0.5
	v_xor_b32_e32 v4, v4, v103
	v_fmac_f64_e32 v[64:65], v[62:63], v[42:43]
	v_and_b32_e32 v4, 0x80000000, v4
	v_fma_f64 v[14:15], v[14:15], v[64:65], -v[18:19]
	v_xor_b32_e32 v3, v3, v4
	v_lshlrev_b32_e32 v2, 30, v80
	v_fmac_f64_e32 v[14:15], s[34:35], v[62:63]
	v_cndmask_b32_e64 v29, v120, v3, s[4:5]
	v_and_b32_e32 v2, 0x80000000, v2
	v_add_f64 v[14:15], v[16:17], -v[14:15]
	v_and_b32_e32 v3, 1, v81
	v_xor_b32_e32 v1, v1, v2
	v_xor_b32_e32 v2, 0x80000000, v15
	v_cmp_eq_u32_e64 s[2:3], 0, v3
	v_lshlrev_b32_e32 v4, 30, v81
	v_cndmask_b32_e64 v2, v2, v41, s[2:3]
	v_and_b32_e32 v4, 0x80000000, v4
	v_cndmask_b32_e64 v3, v14, v40, s[2:3]
	v_xor_b32_e32 v2, v2, v4
	v_cndmask_b32_e64 v0, 0, v0, s[4:5]
	v_cndmask_b32_e64 v1, v120, v1, s[4:5]
	;; [unrolled: 1-line block ×4, first 2 shown]
	v_mul_f64 v[56:57], v[8:9], v[24:25]
	v_mul_f64 v[24:25], v[118:119], v[118:119]
	;; [unrolled: 1-line block ×4, first 2 shown]
	v_fma_f64 v[0:1], v[0:1], v[14:15], v[24:25]
	v_mul_f64 v[14:15], v[68:69], v[68:69]
	v_mul_f64 v[16:17], v[14:15], 0.5
	v_fma_f64 v[42:43], s[22:23], v[14:15], v[20:21]
	v_add_f64 v[18:19], -v[16:17], 1.0
	v_fma_f64 v[42:43], v[14:15], v[42:43], s[24:25]
	v_add_f64 v[40:41], -v[18:19], 1.0
	v_fma_f64 v[42:43], v[14:15], v[42:43], s[26:27]
	v_add_f64 v[16:17], v[40:41], -v[16:17]
	v_fma_f64 v[42:43], v[14:15], v[42:43], s[28:29]
	v_mul_f64 v[40:41], v[14:15], v[14:15]
	v_fma_f64 v[42:43], v[14:15], v[42:43], s[30:31]
	v_fma_f64 v[16:17], v[68:69], -v[70:71], v[16:17]
	v_fmac_f64_e32 v[16:17], v[40:41], v[42:43]
	v_add_f64 v[16:17], v[18:19], v[16:17]
	v_fma_f64 v[18:19], s[38:39], v[14:15], v[22:23]
	v_fma_f64 v[18:19], v[14:15], v[18:19], s[40:41]
	v_div_scale_f64 v[72:73], s[8:9], v[56:57], v[56:57], v[44:45]
	v_fma_f64 v[18:19], v[14:15], v[18:19], s[42:43]
	v_rcp_f64_e32 v[58:59], v[72:73]
	v_fma_f64 v[18:19], v[14:15], v[18:19], s[44:45]
	v_mul_f64 v[40:41], v[68:69], -v[14:15]
	v_mul_f64 v[42:43], v[70:71], 0.5
	v_fmac_f64_e32 v[42:43], v[40:41], v[18:19]
	v_fma_f64 v[14:15], v[14:15], v[42:43], -v[70:71]
	v_fmac_f64_e32 v[14:15], s[34:35], v[40:41]
	v_fma_f64 v[38:39], -v[72:73], v[58:59], 1.0
	v_add_f64 v[14:15], v[68:69], -v[14:15]
	v_and_b32_e32 v3, 1, v90
	v_fmac_f64_e32 v[58:59], v[58:59], v[38:39]
	v_xor_b32_e32 v2, 0x80000000, v15
	v_cmp_eq_u32_e64 s[2:3], 0, v3
	v_lshlrev_b32_e32 v4, 30, v90
	v_fma_f64 v[38:39], -v[72:73], v[58:59], 1.0
	v_cndmask_b32_e64 v2, v2, v17, s[2:3]
	v_and_b32_e32 v4, 0x80000000, v4
	v_fmac_f64_e32 v[58:59], v[58:59], v[38:39]
	v_div_scale_f64 v[74:75], vcc, v[44:45], v[56:57], v[44:45]
	v_cndmask_b32_e64 v3, v14, v16, s[2:3]
	v_xor_b32_e32 v2, v2, v4
	v_mul_f64 v[38:39], v[74:75], v[58:59]
	v_mul_f64 v[10:11], v[8:9], v[26:27]
	v_cndmask_b32_e64 v14, 0, v3, s[4:5]
	v_cndmask_b32_e64 v15, v120, v2, s[4:5]
	v_mul_f64 v[10:11], v[10:11], v[14:15]
	v_fma_f64 v[14:15], -v[72:73], v[38:39], v[74:75]
	v_mul_f64 v[42:43], v[30:31], v[30:31]
	v_mul_f64 v[60:61], v[118:119], v[60:61]
	v_div_fmas_f64 v[14:15], v[14:15], v[58:59], v[38:39]
	v_mul_f64 v[58:59], v[42:43], 0.5
	v_fma_f64 v[64:65], s[22:23], v[42:43], v[20:21]
	v_fmac_f64_e32 v[10:11], v[60:61], v[28:29]
	v_add_f64 v[60:61], -v[58:59], 1.0
	v_fma_f64 v[64:65], v[42:43], v[64:65], s[24:25]
	v_add_f64 v[62:63], -v[60:61], 1.0
	v_fma_f64 v[64:65], v[42:43], v[64:65], s[26:27]
	v_add_f64 v[58:59], v[62:63], -v[58:59]
	v_fma_f64 v[64:65], v[42:43], v[64:65], s[28:29]
	v_mul_f64 v[62:63], v[42:43], v[42:43]
	v_fma_f64 v[64:65], v[42:43], v[64:65], s[30:31]
	v_fma_f64 v[58:59], v[30:31], -v[36:37], v[58:59]
	v_fmac_f64_e32 v[58:59], v[62:63], v[64:65]
	v_add_f64 v[58:59], v[60:61], v[58:59]
	v_fma_f64 v[60:61], s[38:39], v[42:43], v[22:23]
	v_fma_f64 v[60:61], v[42:43], v[60:61], s[40:41]
	;; [unrolled: 1-line block ×3, first 2 shown]
	v_div_scale_f64 v[28:29], s[2:3], v[0:1], v[0:1], -v[10:11]
	v_fma_f64 v[60:61], v[42:43], v[60:61], s[44:45]
	v_mul_f64 v[62:63], v[30:31], -v[42:43]
	v_mul_f64 v[64:65], v[36:37], 0.5
	v_rcp_f64_e32 v[18:19], v[28:29]
	v_fmac_f64_e32 v[64:65], v[62:63], v[60:61]
	v_fma_f64 v[36:37], v[42:43], v[64:65], -v[36:37]
	v_fmac_f64_e32 v[36:37], s[34:35], v[62:63]
	v_add_f64 v[30:31], v[30:31], -v[36:37]
	v_and_b32_e32 v3, 1, v83
	v_fma_f64 v[16:17], -v[28:29], v[18:19], 1.0
	v_xor_b32_e32 v2, 0x80000000, v31
	v_cmp_eq_u32_e64 s[2:3], 0, v3
	v_lshlrev_b32_e32 v4, 30, v83
	v_fmac_f64_e32 v[18:19], v[18:19], v[16:17]
	v_cndmask_b32_e64 v2, v2, v59, s[2:3]
	v_and_b32_e32 v4, 0x80000000, v4
	v_fma_f64 v[16:17], -v[28:29], v[18:19], 1.0
	v_cndmask_b32_e64 v3, v30, v58, s[2:3]
	v_xor_b32_e32 v2, v2, v4
	v_fmac_f64_e32 v[18:19], v[18:19], v[16:17]
	v_mul_f64 v[16:17], v[8:9], v[8:9]
	v_cndmask_b32_e64 v30, 0, v3, s[0:1]
	v_cndmask_b32_e64 v31, v120, v2, s[0:1]
	v_mul_f64 v[16:17], v[16:17], v[30:31]
	v_mul_f64 v[30:31], v[46:47], v[46:47]
	v_mul_f64 v[36:37], v[30:31], 0.5
	v_fma_f64 v[60:61], s[22:23], v[30:31], v[20:21]
	v_add_f64 v[42:43], -v[36:37], 1.0
	v_fma_f64 v[60:61], v[30:31], v[60:61], s[24:25]
	v_add_f64 v[58:59], -v[42:43], 1.0
	v_fma_f64 v[60:61], v[30:31], v[60:61], s[26:27]
	v_add_f64 v[36:37], v[58:59], -v[36:37]
	v_fma_f64 v[60:61], v[30:31], v[60:61], s[28:29]
	v_mul_f64 v[58:59], v[30:31], v[30:31]
	v_fma_f64 v[60:61], v[30:31], v[60:61], s[30:31]
	v_fma_f64 v[36:37], v[46:47], -v[48:49], v[36:37]
	v_fmac_f64_e32 v[36:37], v[58:59], v[60:61]
	v_add_f64 v[36:37], v[42:43], v[36:37]
	v_fma_f64 v[42:43], s[38:39], v[30:31], v[22:23]
	v_fma_f64 v[42:43], v[30:31], v[42:43], s[40:41]
	;; [unrolled: 1-line block ×4, first 2 shown]
	v_mul_f64 v[58:59], v[46:47], -v[30:31]
	v_mul_f64 v[60:61], v[48:49], 0.5
	v_fmac_f64_e32 v[60:61], v[58:59], v[42:43]
	v_fma_f64 v[30:31], v[30:31], v[60:61], -v[48:49]
	v_fmac_f64_e32 v[30:31], s[34:35], v[58:59]
	v_add_f64 v[30:31], v[46:47], -v[30:31]
	v_and_b32_e32 v3, 1, v85
	v_xor_b32_e32 v2, 0x80000000, v31
	v_cmp_eq_u32_e64 s[0:1], 0, v3
	v_lshlrev_b32_e32 v4, 30, v85
	v_cndmask_b32_e64 v2, v2, v37, s[0:1]
	v_and_b32_e32 v4, 0x80000000, v4
	v_cndmask_b32_e64 v3, v30, v36, s[0:1]
	v_xor_b32_e32 v2, v2, v4
	v_mul_f64 v[8:9], v[118:119], v[8:9]
	v_cndmask_b32_e64 v30, 0, v3, s[4:5]
	v_cndmask_b32_e64 v31, v120, v2, s[4:5]
	v_mul_f64 v[8:9], v[8:9], v[26:27]
	v_mul_f64 v[26:27], v[50:51], v[50:51]
	;; [unrolled: 1-line block ×3, first 2 shown]
	v_mul_f64 v[30:31], v[26:27], 0.5
	v_fma_f64 v[46:47], s[22:23], v[26:27], v[20:21]
	v_add_f64 v[36:37], -v[30:31], 1.0
	v_fma_f64 v[46:47], v[26:27], v[46:47], s[24:25]
	v_add_f64 v[42:43], -v[36:37], 1.0
	v_fma_f64 v[46:47], v[26:27], v[46:47], s[26:27]
	v_add_f64 v[30:31], v[42:43], -v[30:31]
	v_fma_f64 v[46:47], v[26:27], v[46:47], s[28:29]
	v_mul_f64 v[42:43], v[26:27], v[26:27]
	v_fma_f64 v[46:47], v[26:27], v[46:47], s[30:31]
	v_fma_f64 v[30:31], v[50:51], -v[52:53], v[30:31]
	v_fmac_f64_e32 v[30:31], v[42:43], v[46:47]
	v_add_f64 v[30:31], v[36:37], v[30:31]
	v_fma_f64 v[36:37], s[38:39], v[26:27], v[22:23]
	v_fma_f64 v[36:37], v[26:27], v[36:37], s[40:41]
	;; [unrolled: 1-line block ×4, first 2 shown]
	v_mul_f64 v[42:43], v[50:51], -v[26:27]
	v_mul_f64 v[46:47], v[52:53], 0.5
	v_fmac_f64_e32 v[46:47], v[42:43], v[36:37]
	v_fma_f64 v[26:27], v[26:27], v[46:47], -v[52:53]
	v_fmac_f64_e32 v[26:27], s[34:35], v[42:43]
	v_and_b32_e32 v2, 1, v86
	v_lshlrev_b32_e32 v4, 30, v86
	v_add_f64 v[26:27], v[50:51], -v[26:27]
	v_cmp_eq_u32_e64 s[0:1], 0, v2
	v_xor_b32_e32 v4, v4, v103
	v_cndmask_b32_e64 v3, v31, v27, s[0:1]
	v_and_b32_e32 v4, 0x80000000, v4
	v_cndmask_b32_e64 v2, v30, v26, s[0:1]
	v_xor_b32_e32 v3, v3, v4
	v_cndmask_b32_e64 v26, 0, v2, s[4:5]
	v_cndmask_b32_e64 v27, v120, v3, s[4:5]
	v_fma_f64 v[16:17], v[8:9], v[26:27], -v[16:17]
	v_div_scale_f64 v[8:9], s[0:1], v[0:1], v[0:1], -v[16:17]
	s_mov_b32 s10, 0
	v_rcp_f64_e32 v[26:27], v[8:9]
	s_brev_b32 s11, 8
	v_div_scale_f64 v[40:41], vcc, -v[10:11], v[0:1], -v[10:11]
	v_add_f64 v[30:31], -v[6:7], 1.0
	v_mul_f64 v[38:39], v[40:41], v[18:19]
	v_cmp_gt_f64_e64 s[0:1], s[10:11], v[30:31]
	v_fma_f64 v[28:29], -v[28:29], v[38:39], v[40:41]
	v_cndmask_b32_e64 v2, 0, 1, s[0:1]
	v_div_fmas_f64 v[18:19], v[28:29], v[18:19], v[38:39]
	v_fma_f64 v[28:29], -v[8:9], v[26:27], 1.0
	v_lshlrev_b32_e32 v2, 8, v2
	v_fmac_f64_e32 v[26:27], v[26:27], v[28:29]
	v_ldexp_f64 v[38:39], v[30:31], v2
	v_fma_f64 v[28:29], -v[8:9], v[26:27], 1.0
	v_rsq_f64_e32 v[40:41], v[38:39]
	v_fmac_f64_e32 v[26:27], v[26:27], v[28:29]
	v_div_scale_f64 v[28:29], vcc, -v[16:17], v[0:1], -v[16:17]
	v_mul_f64 v[36:37], v[28:29], v[26:27]
	v_fma_f64 v[8:9], -v[8:9], v[36:37], v[28:29]
	v_mul_f64 v[28:29], v[40:41], 0.5
	s_nop 0
	v_div_fmas_f64 v[26:27], v[8:9], v[26:27], v[36:37]
	v_mul_f64 v[8:9], v[38:39], v[40:41]
	v_fma_f64 v[36:37], -v[28:29], v[8:9], 0.5
	v_fmac_f64_e32 v[8:9], v[8:9], v[36:37]
	v_fma_f64 v[40:41], -v[8:9], v[8:9], v[38:39]
	v_fmac_f64_e32 v[28:29], v[28:29], v[36:37]
	v_fmac_f64_e32 v[8:9], v[40:41], v[28:29]
	v_fma_f64 v[36:37], -v[8:9], v[8:9], v[38:39]
	s_and_b64 s[0:1], s[0:1], exec
	v_fmac_f64_e32 v[8:9], v[36:37], v[28:29]
	s_cselect_b32 s0, 0xffffff80, 0
	v_ldexp_f64 v[8:9], v[8:9], s0
	v_cmp_class_f64_e32 vcc, v[38:39], v100
	v_cndmask_b32_e32 v9, v9, v39, vcc
	v_cndmask_b32_e32 v8, v8, v38, vcc
	s_mov_b32 s0, 0x88e368f1
	v_add_f64 v[8:9], v[8:9], 1.0
	s_mov_b32 s1, 0x3ee4f8b5
	v_add_f64 v[2:3], v[8:9], s[0:1]
	v_cmp_eq_f64_e32 vcc, 1.0, v[30:31]
	v_frexp_mant_f64_e64 v[8:9], |v[30:31]|
	s_mov_b32 s57, 0x3fe55555
	s_mov_b32 s56, s34
	;; [unrolled: 1-line block ×3, first 2 shown]
	s_and_b64 s[0:1], vcc, exec
	v_cmp_gt_f64_e32 vcc, s[56:57], v[8:9]
	s_cselect_b32 s3, s36, 0x3fd55555
	s_cselect_b32 s2, 0, 0x55555555
	s_and_b64 s[0:1], vcc, exec
	s_mov_b32 s8, 0
	s_cselect_b32 s9, 2.0, 0x3ff00000
	v_mul_f64 v[8:9], v[8:9], s[8:9]
	v_add_f64 v[28:29], v[8:9], 1.0
	v_rcp_f64_e32 v[36:37], v[28:29]
	v_add_f64 v[40:41], v[28:29], -1.0
	v_add_f64 v[38:39], v[8:9], -1.0
	v_add_f64 v[8:9], v[8:9], -v[40:41]
	v_fma_f64 v[40:41], -v[28:29], v[36:37], 1.0
	v_fmac_f64_e32 v[36:37], v[40:41], v[36:37]
	v_fma_f64 v[40:41], -v[28:29], v[36:37], 1.0
	v_fmac_f64_e32 v[36:37], v[40:41], v[36:37]
	v_mul_f64 v[40:41], v[38:39], v[36:37]
	v_mul_f64 v[42:43], v[28:29], v[40:41]
	v_fma_f64 v[28:29], v[40:41], v[28:29], -v[42:43]
	v_fmac_f64_e32 v[28:29], v[40:41], v[8:9]
	v_add_f64 v[8:9], v[42:43], v[28:29]
	v_add_f64 v[46:47], v[38:39], -v[8:9]
	v_add_f64 v[42:43], v[8:9], -v[42:43]
	;; [unrolled: 1-line block ×5, first 2 shown]
	v_add_f64 v[8:9], v[28:29], v[8:9]
	v_add_f64 v[8:9], v[46:47], v[8:9]
	v_mul_f64 v[8:9], v[36:37], v[8:9]
	v_add_f64 v[28:29], v[40:41], v[8:9]
	v_add_f64 v[36:37], v[28:29], -v[40:41]
	buffer_store_dword v2, off, s[96:99], 0 offset:224 ; 4-byte Folded Spill
	s_nop 0
	buffer_store_dword v3, off, s[96:99], 0 offset:228 ; 4-byte Folded Spill
	v_add_f64 v[36:37], v[8:9], -v[36:37]
	v_mul_f64 v[8:9], v[28:29], v[28:29]
	v_frexp_exp_i32_f64_e32 v2, v[30:31]
	v_fma_f64 v[38:39], v[28:29], v[28:29], -v[8:9]
	v_add_f64 v[40:41], v[36:37], v[36:37]
	v_subbrev_co_u32_e64 v2, s[0:1], 0, v2, vcc
	v_fmac_f64_e32 v[38:39], v[28:29], v[40:41]
	v_add_f64 v[40:41], v[8:9], v[38:39]
	s_mov_b32 s0, 0x968915a9
	v_add_f64 v[8:9], v[40:41], -v[8:9]
	s_mov_b32 s1, 0x3fba6564
	s_mov_b32 s58, 0x4222de17
	v_add_f64 v[38:39], v[38:39], -v[8:9]
	s_mov_b32 s59, 0x3fbdee67
	v_pk_mov_b32 v[8:9], s[0:1], s[0:1] op_sel:[0,1]
	s_mov_b32 s54, 0x3abe935a
	v_fma_f64 v[42:43], s[58:59], v[40:41], v[8:9]
	s_mov_b32 s55, 0x3fbe25e4
	s_mov_b32 s6, 0x47e6c9c2
	;; [unrolled: 1-line block ×3, first 2 shown]
	v_fma_f64 v[42:43], v[40:41], v[42:43], s[54:55]
	s_mov_b32 s7, 0x3fc110ef
	s_mov_b32 s14, 0xcfa74449
	v_cvt_f64_i32_e32 v[46:47], v2
	s_mov_b32 s63, 0x3fe62e42
	v_fma_f64 v[42:43], v[40:41], v[42:43], s[6:7]
	s_mov_b32 s15, 0x3fc3b13b
	s_mov_b32 s16, 0x71bf3c30
	v_mul_f64 v[48:49], v[46:47], s[62:63]
	s_mov_b32 s64, 0x3b39803f
	v_fma_f64 v[42:43], v[40:41], v[42:43], s[14:15]
	s_mov_b32 s17, 0x3fc745d1
	s_mov_b32 s18, 0x1c7792ce
	v_fma_f64 v[50:51], v[46:47], s[62:63], -v[48:49]
	s_mov_b32 s65, 0x3c7abc9e
	v_mul_f64 v[58:59], v[28:29], v[40:41]
	v_fma_f64 v[42:43], v[40:41], v[42:43], s[16:17]
	s_mov_b32 s19, 0x3fcc71c7
	s_mov_b32 s20, 0x924920da
	v_fmac_f64_e32 v[50:51], s[64:65], v[46:47]
	v_fma_f64 v[60:61], v[40:41], v[28:29], -v[58:59]
	v_fma_f64 v[42:43], v[40:41], v[42:43], s[18:19]
	s_mov_b32 s21, 0x3fd24924
	v_add_f64 v[46:47], v[48:49], v[50:51]
	v_fmac_f64_e32 v[60:61], v[40:41], v[36:37]
	v_fma_f64 v[42:43], v[40:41], v[42:43], s[20:21]
	s_mov_b32 s61, 0x3fd99999
	s_mov_b32 s60, 0x9999999c
	v_add_f64 v[48:49], v[46:47], -v[48:49]
	v_fmac_f64_e32 v[60:61], v[38:39], v[28:29]
	v_fma_f64 v[42:43], v[40:41], v[42:43], s[60:61]
	v_add_f64 v[48:49], v[50:51], -v[48:49]
	v_ldexp_f64 v[50:51], v[28:29], 1
	v_add_f64 v[28:29], v[58:59], v[60:61]
	v_ldexp_f64 v[52:53], v[36:37], 1
	v_add_f64 v[36:37], v[28:29], -v[58:59]
	v_mul_f64 v[58:59], v[40:41], v[42:43]
	v_fma_f64 v[40:41], v[40:41], v[42:43], -v[58:59]
	v_fmac_f64_e32 v[40:41], v[38:39], v[42:43]
	v_add_f64 v[38:39], v[58:59], v[40:41]
	v_add_f64 v[42:43], v[38:39], -v[58:59]
	v_add_f64 v[40:41], v[40:41], -v[42:43]
	v_add_f64 v[42:43], v[38:39], s[56:57]
	s_mov_b32 s67, 0xbfe55555
	s_mov_b32 s66, s34
	;; [unrolled: 1-line block ×3, first 2 shown]
	v_add_f64 v[58:59], v[42:43], s[66:67]
	s_mov_b32 s69, 0x3c8543b0
	v_add_f64 v[38:39], v[38:39], -v[58:59]
	v_add_f64 v[40:41], v[40:41], s[68:69]
	v_add_f64 v[38:39], v[40:41], v[38:39]
	;; [unrolled: 1-line block ×3, first 2 shown]
	v_add_f64 v[42:43], v[42:43], -v[40:41]
	v_add_f64 v[38:39], v[38:39], v[42:43]
	v_mul_f64 v[42:43], v[28:29], v[40:41]
	v_fma_f64 v[58:59], v[28:29], v[40:41], -v[42:43]
	v_add_f64 v[36:37], v[60:61], -v[36:37]
	v_fmac_f64_e32 v[58:59], v[28:29], v[38:39]
	v_fmac_f64_e32 v[58:59], v[36:37], v[40:41]
	v_add_f64 v[28:29], v[42:43], v[58:59]
	v_add_f64 v[36:37], v[28:29], -v[42:43]
	v_add_f64 v[38:39], v[50:51], v[28:29]
	v_add_f64 v[36:37], v[58:59], -v[36:37]
	v_add_f64 v[40:41], v[38:39], -v[50:51]
	;; [unrolled: 1-line block ×3, first 2 shown]
	v_add_f64 v[36:37], v[52:53], v[36:37]
	v_add_f64 v[28:29], v[36:37], v[28:29]
	;; [unrolled: 1-line block ×3, first 2 shown]
	v_add_f64 v[38:39], v[36:37], -v[38:39]
	v_add_f64 v[28:29], v[28:29], -v[38:39]
	v_add_f64 v[38:39], v[46:47], v[36:37]
	v_add_f64 v[40:41], v[38:39], -v[46:47]
	v_add_f64 v[42:43], v[38:39], -v[40:41]
	;; [unrolled: 1-line block ×4, first 2 shown]
	v_add_f64 v[36:37], v[36:37], v[42:43]
	v_add_f64 v[40:41], v[48:49], v[28:29]
	v_add_f64 v[42:43], v[40:41], -v[48:49]
	v_add_f64 v[36:37], v[40:41], v[36:37]
	v_add_f64 v[46:47], v[40:41], -v[42:43]
	;; [unrolled: 2-line block ×3, first 2 shown]
	v_add_f64 v[28:29], v[28:29], -v[42:43]
	v_add_f64 v[38:39], v[40:41], -v[38:39]
	v_add_f64 v[28:29], v[28:29], v[46:47]
	v_add_f64 v[36:37], v[36:37], -v[38:39]
	v_add_f64 v[28:29], v[28:29], v[36:37]
	v_add_f64 v[36:37], v[40:41], v[28:29]
	v_add_f64 v[38:39], v[36:37], -v[40:41]
	v_add_f64 v[28:29], v[28:29], -v[38:39]
	v_mul_f64 v[38:39], s[2:3], v[36:37]
	v_fma_f64 v[36:37], s[2:3], v[36:37], -v[38:39]
	v_fmac_f64_e32 v[36:37], s[2:3], v[28:29]
	s_movk_i32 s53, 0x204
	v_add_f64 v[28:29], v[38:39], v[36:37]
	v_cmp_class_f64_e64 vcc, v[38:39], s53
	v_add_f64 v[40:41], v[28:29], -v[38:39]
	v_cndmask_b32_e32 v39, v29, v39, vcc
	v_cndmask_b32_e32 v38, v28, v38, vcc
	s_mov_b32 s73, 0x3ff71547
	s_mov_b32 s72, 0x652b82fe
	;; [unrolled: 1-line block ×3, first 2 shown]
	v_writelane_b32 v127, s0, 6
	v_mul_f64 v[28:29], v[38:39], s[72:73]
	v_add_f64 v[36:37], v[36:37], -v[40:41]
	v_writelane_b32 v127, s1, 7
	v_rndne_f64_e32 v[40:41], v[28:29]
	s_mov_b32 s75, 0xbfe62e42
	s_mov_b32 s74, s62
	;; [unrolled: 1-line block ×3, first 2 shown]
	v_fma_f64 v[42:43], s[74:75], v[40:41], v[38:39]
	s_mov_b32 s77, 0xbc7abc9e
	s_mov_b32 s76, s64
	;; [unrolled: 1-line block ×4, first 2 shown]
	v_fmac_f64_e32 v[42:43], s[76:77], v[40:41]
	s_mov_b32 s79, 0x3e5ade15
	v_pk_mov_b32 v[28:29], s[0:1], s[0:1] op_sel:[0,1]
	s_mov_b32 s80, 0x623fde64
	v_fma_f64 v[46:47], s[78:79], v[42:43], v[28:29]
	s_mov_b32 s81, 0x3ec71dee
	s_mov_b32 s82, 0x7c89e6b0
	v_fma_f64 v[46:47], v[42:43], v[46:47], s[80:81]
	s_mov_b32 s83, 0x3efa0199
	;; [unrolled: 3-line block ×4, first 2 shown]
	v_fma_f64 v[46:47], v[42:43], v[46:47], s[86:87]
	s_mov_b32 s88, 0x11122322
	s_mov_b32 s89, s45
	v_fma_f64 v[46:47], v[42:43], v[46:47], s[88:89]
	s_mov_b32 s90, 0x555502a1
	s_mov_b32 s91, s31
	;; [unrolled: 1-line block ×3, first 2 shown]
	v_fma_f64 v[46:47], v[42:43], v[46:47], s[90:91]
	s_mov_b32 s93, 0x3fc55555
	s_mov_b32 s94, 11
	v_fma_f64 v[46:47], v[42:43], v[46:47], s[92:93]
	s_mov_b32 s95, 0x3fe00000
	v_fma_f64 v[46:47], v[42:43], v[46:47], s[94:95]
	v_fma_f64 v[46:47], v[42:43], v[46:47], 1.0
	s_mov_b32 s50, 0
	v_cmp_neq_f64_e64 vcc, |v[38:39]|, s[46:47]
	v_fma_f64 v[42:43], v[42:43], v[46:47], 1.0
	v_cvt_i32_f64_e32 v2, v[40:41]
	s_mov_b32 s51, 0x40900000
	v_cndmask_b32_e32 v37, 0, v37, vcc
	v_cndmask_b32_e32 v36, 0, v36, vcc
	v_ldexp_f64 v[40:41], v[42:43], v2
	v_cmp_lt_f64_e32 vcc, s[50:51], v[38:39]
	v_mov_b32_e32 v66, 0x7ff00000
	v_cndmask_b32_e32 v3, v41, v66, vcc
	v_and_b32_e32 v41, 0x7fffffff, v41
	s_mov_b32 s10, 0
	v_cmp_eq_f64_e64 s[0:1], s[46:47], v[40:41]
	s_mov_b32 s11, 0xc090cc00
	v_cndmask_b32_e64 v2, v40, 0, vcc
	s_or_b64 s[0:1], vcc, s[0:1]
	v_cmp_ngt_f64_e32 vcc, s[10:11], v[38:39]
	v_cndmask_b32_e32 v39, 0, v3, vcc
	v_cndmask_b32_e32 v38, 0, v2, vcc
	v_pk_mov_b32 v[40:41], v[38:39], v[38:39] op_sel:[0,1]
	v_fmac_f64_e32 v[40:41], v[40:41], v[36:37]
	s_and_b64 vcc, vcc, s[0:1]
	v_cndmask_b32_e32 v2, v40, v38, vcc
	v_cndmask_b32_e32 v3, v41, v39, vcc
	v_trunc_f64_e32 v[36:37], s[2:3]
	v_mul_f64 v[38:39], s[2:3], 0.5
	v_cmp_eq_f64_e32 vcc, s[2:3], v[36:37]
	v_trunc_f64_e32 v[36:37], v[38:39]
	v_cmp_neq_f64_e64 s[0:1], v[36:37], v[38:39]
	v_mov_b32_e32 v67, 0x3ff00000
	s_and_b64 s[0:1], vcc, s[0:1]
	v_cndmask_b32_e64 v4, v67, v31, s[0:1]
	v_bfi_b32 v3, s52, v3, v4
	v_cndmask_b32_e32 v4, v120, v3, vcc
	v_cndmask_b32_e32 v5, 0, v2, vcc
	v_cmp_gt_f64_e32 vcc, 0, v[30:31]
	v_cndmask_b32_e32 v2, v2, v5, vcc
	v_cndmask_b32_e32 v3, v3, v4, vcc
	v_cmp_class_f64_e64 s[2:3], v[30:31], s53
	v_cmp_eq_f64_e32 vcc, 0, v[30:31]
	s_or_b64 s[2:3], vcc, s[2:3]
	s_and_b64 s[48:49], vcc, exec
	v_cndmask_b32_e64 v4, 0, v31, s[0:1]
	s_cselect_b32 s0, 0, 0x7ff00000
	v_mov_b32_e32 v5, s0
	v_bfi_b32 v4, s52, v5, v4
	v_cndmask_b32_e64 v3, v3, v4, s[2:3]
	v_cndmask_b32_e64 v2, v2, 0, s[2:3]
	v_cmp_o_f64_e32 vcc, v[30:31], v[30:31]
	v_add_f64 v[36:37], s[12:13], 1.0
	v_cndmask_b32_e32 v30, 0, v2, vcc
	v_cndmask_b32_e32 v31, v120, v3, vcc
	v_cmp_eq_f64_e32 vcc, 1.0, v[36:37]
	v_frexp_mant_f64_e64 v[38:39], |v[36:37]|
	s_and_b64 s[0:1], vcc, exec
	v_cmp_gt_f64_e32 vcc, s[56:57], v[38:39]
	s_cselect_b32 s49, s36, 0x3fd55555
	s_cselect_b32 s48, 0, 0x55555555
	s_and_b64 s[0:1], vcc, exec
	s_cselect_b32 s9, 2.0, 0x3ff00000
	v_mul_f64 v[38:39], v[38:39], s[8:9]
	v_add_f64 v[40:41], v[38:39], 1.0
	v_rcp_f64_e32 v[42:43], v[40:41]
	v_add_f64 v[48:49], v[40:41], -1.0
	v_add_f64 v[46:47], v[38:39], -1.0
	v_add_f64 v[38:39], v[38:39], -v[48:49]
	v_fma_f64 v[48:49], -v[40:41], v[42:43], 1.0
	v_fmac_f64_e32 v[42:43], v[48:49], v[42:43]
	v_fma_f64 v[48:49], -v[40:41], v[42:43], 1.0
	v_fmac_f64_e32 v[42:43], v[48:49], v[42:43]
	v_mul_f64 v[48:49], v[46:47], v[42:43]
	v_mul_f64 v[50:51], v[40:41], v[48:49]
	v_fma_f64 v[40:41], v[48:49], v[40:41], -v[50:51]
	v_fmac_f64_e32 v[40:41], v[48:49], v[38:39]
	v_add_f64 v[38:39], v[50:51], v[40:41]
	v_add_f64 v[52:53], v[46:47], -v[38:39]
	v_add_f64 v[50:51], v[38:39], -v[50:51]
	;; [unrolled: 1-line block ×5, first 2 shown]
	v_add_f64 v[38:39], v[40:41], v[38:39]
	v_add_f64 v[38:39], v[52:53], v[38:39]
	v_mul_f64 v[38:39], v[42:43], v[38:39]
	v_add_f64 v[40:41], v[48:49], v[38:39]
	v_add_f64 v[42:43], v[40:41], -v[48:49]
	v_add_f64 v[38:39], v[38:39], -v[42:43]
	v_mul_f64 v[42:43], v[40:41], v[40:41]
	v_fma_f64 v[46:47], v[40:41], v[40:41], -v[42:43]
	v_add_f64 v[48:49], v[38:39], v[38:39]
	v_fmac_f64_e32 v[46:47], v[40:41], v[48:49]
	v_add_f64 v[48:49], v[42:43], v[46:47]
	v_add_f64 v[42:43], v[48:49], -v[42:43]
	v_frexp_exp_i32_f64_e32 v2, v[36:37]
	v_add_f64 v[42:43], v[46:47], -v[42:43]
	v_fma_f64 v[46:47], s[58:59], v[48:49], v[8:9]
	v_subbrev_co_u32_e64 v2, s[0:1], 0, v2, vcc
	v_fma_f64 v[46:47], v[48:49], v[46:47], s[54:55]
	v_fma_f64 v[46:47], v[48:49], v[46:47], s[6:7]
	v_cvt_f64_i32_e32 v[50:51], v2
	v_fma_f64 v[46:47], v[48:49], v[46:47], s[14:15]
	v_mul_f64 v[52:53], v[50:51], s[62:63]
	v_mul_f64 v[62:63], v[40:41], v[48:49]
	v_fma_f64 v[46:47], v[48:49], v[46:47], s[16:17]
	v_fma_f64 v[58:59], v[50:51], s[62:63], -v[52:53]
	v_fma_f64 v[64:65], v[48:49], v[40:41], -v[62:63]
	v_fma_f64 v[46:47], v[48:49], v[46:47], s[18:19]
	v_fmac_f64_e32 v[58:59], s[64:65], v[50:51]
	v_fmac_f64_e32 v[64:65], v[48:49], v[38:39]
	v_fma_f64 v[46:47], v[48:49], v[46:47], s[20:21]
	v_add_f64 v[50:51], v[52:53], v[58:59]
	v_fmac_f64_e32 v[64:65], v[42:43], v[40:41]
	v_fma_f64 v[46:47], v[48:49], v[46:47], s[60:61]
	v_add_f64 v[52:53], v[50:51], -v[52:53]
	v_ldexp_f64 v[60:61], v[38:39], 1
	v_add_f64 v[38:39], v[62:63], v[64:65]
	v_add_f64 v[52:53], v[58:59], -v[52:53]
	v_ldexp_f64 v[58:59], v[40:41], 1
	v_add_f64 v[40:41], v[38:39], -v[62:63]
	v_mul_f64 v[62:63], v[48:49], v[46:47]
	v_fma_f64 v[48:49], v[48:49], v[46:47], -v[62:63]
	v_fmac_f64_e32 v[48:49], v[42:43], v[46:47]
	v_add_f64 v[42:43], v[62:63], v[48:49]
	v_add_f64 v[46:47], v[42:43], -v[62:63]
	v_add_f64 v[46:47], v[48:49], -v[46:47]
	v_add_f64 v[48:49], v[42:43], s[56:57]
	v_add_f64 v[62:63], v[48:49], s[66:67]
	v_add_f64 v[42:43], v[42:43], -v[62:63]
	v_add_f64 v[46:47], v[46:47], s[68:69]
	v_add_f64 v[42:43], v[46:47], v[42:43]
	;; [unrolled: 1-line block ×3, first 2 shown]
	v_add_f64 v[48:49], v[48:49], -v[46:47]
	v_add_f64 v[42:43], v[42:43], v[48:49]
	v_mul_f64 v[48:49], v[38:39], v[46:47]
	v_fma_f64 v[62:63], v[38:39], v[46:47], -v[48:49]
	v_add_f64 v[40:41], v[64:65], -v[40:41]
	v_fmac_f64_e32 v[62:63], v[38:39], v[42:43]
	v_fmac_f64_e32 v[62:63], v[40:41], v[46:47]
	v_add_f64 v[38:39], v[48:49], v[62:63]
	v_add_f64 v[40:41], v[38:39], -v[48:49]
	v_add_f64 v[42:43], v[58:59], v[38:39]
	v_add_f64 v[40:41], v[62:63], -v[40:41]
	v_add_f64 v[46:47], v[42:43], -v[58:59]
	v_add_f64 v[38:39], v[38:39], -v[46:47]
	v_add_f64 v[40:41], v[60:61], v[40:41]
	v_add_f64 v[38:39], v[40:41], v[38:39]
	;; [unrolled: 1-line block ×3, first 2 shown]
	v_add_f64 v[42:43], v[40:41], -v[42:43]
	v_add_f64 v[38:39], v[38:39], -v[42:43]
	v_add_f64 v[42:43], v[50:51], v[40:41]
	v_add_f64 v[46:47], v[42:43], -v[50:51]
	v_add_f64 v[48:49], v[42:43], -v[46:47]
	;; [unrolled: 1-line block ×4, first 2 shown]
	v_add_f64 v[40:41], v[40:41], v[48:49]
	v_add_f64 v[46:47], v[52:53], v[38:39]
	v_add_f64 v[48:49], v[46:47], -v[52:53]
	v_add_f64 v[40:41], v[46:47], v[40:41]
	v_add_f64 v[50:51], v[46:47], -v[48:49]
	;; [unrolled: 2-line block ×3, first 2 shown]
	v_add_f64 v[38:39], v[38:39], -v[48:49]
	v_add_f64 v[42:43], v[46:47], -v[42:43]
	v_add_f64 v[38:39], v[38:39], v[50:51]
	v_add_f64 v[40:41], v[40:41], -v[42:43]
	v_add_f64 v[38:39], v[38:39], v[40:41]
	v_add_f64 v[40:41], v[46:47], v[38:39]
	v_add_f64 v[42:43], v[40:41], -v[46:47]
	v_add_f64 v[38:39], v[38:39], -v[42:43]
	v_mul_f64 v[42:43], s[48:49], v[40:41]
	v_fma_f64 v[40:41], s[48:49], v[40:41], -v[42:43]
	v_fmac_f64_e32 v[40:41], s[48:49], v[38:39]
	v_add_f64 v[38:39], v[42:43], v[40:41]
	v_cmp_class_f64_e64 vcc, v[42:43], s53
	v_cndmask_b32_e32 v47, v39, v43, vcc
	v_cndmask_b32_e32 v46, v38, v42, vcc
	v_add_f64 v[38:39], v[38:39], -v[42:43]
	v_add_f64 v[38:39], v[40:41], -v[38:39]
	v_mul_f64 v[40:41], v[46:47], s[72:73]
	v_rndne_f64_e32 v[40:41], v[40:41]
	v_fma_f64 v[42:43], s[74:75], v[40:41], v[46:47]
	v_fmac_f64_e32 v[42:43], s[76:77], v[40:41]
	v_fma_f64 v[48:49], s[78:79], v[42:43], v[28:29]
	v_fma_f64 v[48:49], v[42:43], v[48:49], s[80:81]
	;; [unrolled: 1-line block ×9, first 2 shown]
	v_cmp_neq_f64_e64 vcc, |v[46:47]|, s[46:47]
	v_fma_f64 v[48:49], v[42:43], v[48:49], 1.0
	v_cndmask_b32_e32 v39, 0, v39, vcc
	v_cndmask_b32_e32 v38, 0, v38, vcc
	v_fma_f64 v[42:43], v[42:43], v[48:49], 1.0
	v_cvt_i32_f64_e32 v2, v[40:41]
	v_cmp_lt_f64_e32 vcc, s[50:51], v[46:47]
	v_ldexp_f64 v[40:41], v[42:43], v2
	s_and_b64 s[0:1], vcc, exec
	v_readfirstlane_b32 s0, v40
	v_mov_b32_e32 v40, s0
	s_cselect_b32 s9, 0, s0
	v_cmp_ngt_f64_e64 s[0:1], s[10:11], v[46:47]
	v_cndmask_b32_e32 v2, v41, v66, vcc
	s_and_b64 s[2:3], s[0:1], exec
	v_and_b32_e32 v41, 0x7fffffff, v41
	s_cselect_b32 s9, s9, 0
	v_cmp_eq_f64_e64 s[2:3], s[46:47], v[40:41]
	v_cndmask_b32_e64 v43, 0, v2, s[0:1]
	s_or_b64 s[2:3], vcc, s[2:3]
	v_mov_b32_e32 v42, s9
	v_pk_mov_b32 v[40:41], v[42:43], v[42:43] op_sel:[0,1]
	s_and_b64 vcc, s[0:1], s[2:3]
	v_fmac_f64_e32 v[40:41], v[40:41], v[38:39]
	s_and_b64 s[0:1], vcc, exec
	v_cndmask_b32_e32 v2, v41, v43, vcc
	v_readfirstlane_b32 s0, v40
	v_trunc_f64_e32 v[38:39], s[48:49]
	v_mul_f64 v[40:41], s[48:49], 0.5
	v_cmp_eq_f64_e32 vcc, s[48:49], v[38:39]
	v_trunc_f64_e32 v[38:39], v[40:41]
	s_cselect_b32 s9, s9, s0
	v_cmp_neq_f64_e64 s[0:1], v[38:39], v[40:41]
	s_and_b64 s[0:1], vcc, s[0:1]
	v_cndmask_b32_e64 v3, v67, v37, s[0:1]
	v_bfi_b32 v2, s52, v2, v3
	v_cndmask_b32_e32 v3, v120, v2, vcc
	s_and_b64 s[2:3], vcc, exec
	v_cmp_gt_f64_e32 vcc, 0, v[36:37]
	s_cselect_b32 s37, s9, 0
	s_and_b64 s[2:3], vcc, exec
	v_cndmask_b32_e32 v2, v2, v3, vcc
	v_cmp_class_f64_e64 s[2:3], v[36:37], s53
	v_cmp_eq_f64_e32 vcc, 0, v[36:37]
	s_cselect_b32 s9, s37, s9
	s_or_b64 s[2:3], vcc, s[2:3]
	s_and_b64 s[48:49], vcc, exec
	v_cndmask_b32_e64 v3, 0, v37, s[0:1]
	s_cselect_b32 s0, 0, 0x7ff00000
	v_mov_b32_e32 v4, s0
	v_bfi_b32 v3, s52, v4, v3
	v_cndmask_b32_e64 v2, v2, v3, s[2:3]
	s_and_b64 s[0:1], s[2:3], exec
	v_cmp_o_f64_e32 vcc, v[36:37], v[36:37]
	v_add_f64 v[36:37], -s[12:13], 1.0
	s_cselect_b32 s2, 0, s9
	v_cndmask_b32_e32 v39, v120, v2, vcc
	s_and_b64 s[0:1], vcc, exec
	v_cmp_eq_f64_e32 vcc, 1.0, v[36:37]
	v_frexp_mant_f64_e64 v[40:41], |v[36:37]|
	s_cselect_b32 s70, s2, 0
	s_and_b64 s[0:1], vcc, exec
	v_cmp_gt_f64_e32 vcc, s[56:57], v[40:41]
	s_cselect_b32 s49, s36, 0x3fd55555
	s_cselect_b32 s48, 0, 0x55555555
	s_and_b64 s[0:1], vcc, exec
	s_cselect_b32 s9, 2.0, 0x3ff00000
	v_mul_f64 v[40:41], v[40:41], s[8:9]
	v_add_f64 v[42:43], v[40:41], 1.0
	v_rcp_f64_e32 v[46:47], v[42:43]
	v_add_f64 v[50:51], v[42:43], -1.0
	v_add_f64 v[48:49], v[40:41], -1.0
	v_add_f64 v[40:41], v[40:41], -v[50:51]
	v_fma_f64 v[50:51], -v[42:43], v[46:47], 1.0
	v_fmac_f64_e32 v[46:47], v[50:51], v[46:47]
	v_fma_f64 v[50:51], -v[42:43], v[46:47], 1.0
	v_fmac_f64_e32 v[46:47], v[50:51], v[46:47]
	v_mul_f64 v[50:51], v[48:49], v[46:47]
	v_mul_f64 v[52:53], v[42:43], v[50:51]
	v_fma_f64 v[42:43], v[50:51], v[42:43], -v[52:53]
	v_fmac_f64_e32 v[42:43], v[50:51], v[40:41]
	v_add_f64 v[40:41], v[52:53], v[42:43]
	v_add_f64 v[58:59], v[48:49], -v[40:41]
	v_add_f64 v[52:53], v[40:41], -v[52:53]
	;; [unrolled: 1-line block ×5, first 2 shown]
	v_add_f64 v[40:41], v[42:43], v[40:41]
	v_add_f64 v[40:41], v[58:59], v[40:41]
	v_mul_f64 v[40:41], v[46:47], v[40:41]
	v_add_f64 v[42:43], v[50:51], v[40:41]
	v_add_f64 v[46:47], v[42:43], -v[50:51]
	v_add_f64 v[40:41], v[40:41], -v[46:47]
	v_mul_f64 v[46:47], v[42:43], v[42:43]
	v_fma_f64 v[48:49], v[42:43], v[42:43], -v[46:47]
	v_add_f64 v[50:51], v[40:41], v[40:41]
	v_fmac_f64_e32 v[48:49], v[42:43], v[50:51]
	v_add_f64 v[50:51], v[46:47], v[48:49]
	v_frexp_exp_i32_f64_e32 v2, v[36:37]
	v_fmac_f64_e32 v[8:9], s[58:59], v[50:51]
	v_subbrev_co_u32_e64 v2, s[0:1], 0, v2, vcc
	v_fma_f64 v[8:9], v[50:51], v[8:9], s[54:55]
	v_add_f64 v[46:47], v[50:51], -v[46:47]
	v_fma_f64 v[8:9], v[50:51], v[8:9], s[6:7]
	v_add_f64 v[46:47], v[48:49], -v[46:47]
	v_cvt_f64_i32_e32 v[48:49], v2
	v_fma_f64 v[8:9], v[50:51], v[8:9], s[14:15]
	v_mul_f64 v[52:53], v[48:49], s[62:63]
	v_mul_f64 v[62:63], v[42:43], v[50:51]
	v_fma_f64 v[8:9], v[50:51], v[8:9], s[16:17]
	v_fma_f64 v[58:59], v[48:49], s[62:63], -v[52:53]
	v_fma_f64 v[64:65], v[50:51], v[42:43], -v[62:63]
	v_fma_f64 v[8:9], v[50:51], v[8:9], s[18:19]
	v_fmac_f64_e32 v[58:59], s[64:65], v[48:49]
	v_fmac_f64_e32 v[64:65], v[50:51], v[40:41]
	v_fma_f64 v[8:9], v[50:51], v[8:9], s[20:21]
	v_add_f64 v[48:49], v[52:53], v[58:59]
	v_fmac_f64_e32 v[64:65], v[46:47], v[42:43]
	v_fma_f64 v[8:9], v[50:51], v[8:9], s[60:61]
	v_add_f64 v[52:53], v[48:49], -v[52:53]
	v_ldexp_f64 v[60:61], v[40:41], 1
	v_add_f64 v[40:41], v[62:63], v[64:65]
	v_add_f64 v[52:53], v[58:59], -v[52:53]
	v_ldexp_f64 v[58:59], v[42:43], 1
	v_add_f64 v[42:43], v[40:41], -v[62:63]
	v_mul_f64 v[62:63], v[50:51], v[8:9]
	v_fma_f64 v[50:51], v[50:51], v[8:9], -v[62:63]
	v_fmac_f64_e32 v[50:51], v[46:47], v[8:9]
	v_add_f64 v[8:9], v[62:63], v[50:51]
	v_add_f64 v[46:47], v[8:9], -v[62:63]
	v_add_f64 v[46:47], v[50:51], -v[46:47]
	v_add_f64 v[50:51], v[8:9], s[56:57]
	v_add_f64 v[62:63], v[50:51], s[66:67]
	v_add_f64 v[8:9], v[8:9], -v[62:63]
	v_add_f64 v[46:47], v[46:47], s[68:69]
	v_add_f64 v[8:9], v[46:47], v[8:9]
	;; [unrolled: 1-line block ×3, first 2 shown]
	v_add_f64 v[50:51], v[50:51], -v[46:47]
	v_add_f64 v[8:9], v[8:9], v[50:51]
	v_mul_f64 v[50:51], v[40:41], v[46:47]
	v_fma_f64 v[62:63], v[40:41], v[46:47], -v[50:51]
	v_add_f64 v[42:43], v[64:65], -v[42:43]
	v_fmac_f64_e32 v[62:63], v[40:41], v[8:9]
	v_fmac_f64_e32 v[62:63], v[42:43], v[46:47]
	v_add_f64 v[8:9], v[50:51], v[62:63]
	v_add_f64 v[40:41], v[8:9], -v[50:51]
	v_add_f64 v[42:43], v[58:59], v[8:9]
	v_add_f64 v[40:41], v[62:63], -v[40:41]
	v_add_f64 v[46:47], v[42:43], -v[58:59]
	;; [unrolled: 1-line block ×3, first 2 shown]
	v_add_f64 v[40:41], v[60:61], v[40:41]
	v_add_f64 v[8:9], v[40:41], v[8:9]
	;; [unrolled: 1-line block ×3, first 2 shown]
	v_add_f64 v[42:43], v[40:41], -v[42:43]
	v_add_f64 v[8:9], v[8:9], -v[42:43]
	v_add_f64 v[42:43], v[48:49], v[40:41]
	v_add_f64 v[46:47], v[42:43], -v[48:49]
	v_add_f64 v[50:51], v[42:43], -v[46:47]
	;; [unrolled: 1-line block ×4, first 2 shown]
	v_add_f64 v[40:41], v[40:41], v[48:49]
	v_add_f64 v[46:47], v[52:53], v[8:9]
	v_add_f64 v[48:49], v[46:47], -v[52:53]
	v_add_f64 v[40:41], v[46:47], v[40:41]
	v_add_f64 v[50:51], v[46:47], -v[48:49]
	;; [unrolled: 2-line block ×3, first 2 shown]
	v_add_f64 v[8:9], v[8:9], -v[48:49]
	v_add_f64 v[42:43], v[46:47], -v[42:43]
	v_add_f64 v[8:9], v[8:9], v[50:51]
	v_add_f64 v[40:41], v[40:41], -v[42:43]
	v_add_f64 v[8:9], v[8:9], v[40:41]
	v_add_f64 v[40:41], v[46:47], v[8:9]
	v_add_f64 v[42:43], v[40:41], -v[46:47]
	s_mov_b32 s1, s61
	v_add_f64 v[8:9], v[8:9], -v[42:43]
	v_mul_f64 v[42:43], s[48:49], v[40:41]
	v_writelane_b32 v127, s0, 8
	v_fma_f64 v[40:41], s[48:49], v[40:41], -v[42:43]
	v_writelane_b32 v127, s1, 9
	s_mov_b32 s1, s67
	v_fmac_f64_e32 v[40:41], s[48:49], v[8:9]
	v_writelane_b32 v127, s0, 10
	v_add_f64 v[8:9], v[42:43], v[40:41]
	v_cmp_class_f64_e64 vcc, v[42:43], s53
	v_writelane_b32 v127, s1, 11
	v_cndmask_b32_e32 v47, v9, v43, vcc
	v_cndmask_b32_e32 v46, v8, v42, vcc
	v_add_f64 v[8:9], v[8:9], -v[42:43]
	v_add_f64 v[8:9], v[40:41], -v[8:9]
	v_writelane_b32 v127, s72, 12
	v_mul_f64 v[40:41], v[46:47], s[72:73]
	v_rndne_f64_e32 v[40:41], v[40:41]
	v_fma_f64 v[42:43], s[74:75], v[40:41], v[46:47]
	v_writelane_b32 v127, s73, 13
	s_mov_b32 s1, s75
	v_fmac_f64_e32 v[42:43], s[76:77], v[40:41]
	v_writelane_b32 v127, s0, 14
	v_fma_f64 v[28:29], s[78:79], v[42:43], v[28:29]
	v_writelane_b32 v127, s1, 15
	s_mov_b32 s1, s77
	v_fma_f64 v[28:29], v[42:43], v[28:29], s[80:81]
	v_writelane_b32 v127, s0, 16
	v_fma_f64 v[28:29], v[42:43], v[28:29], s[82:83]
	v_writelane_b32 v127, s1, 17
	v_fma_f64 v[28:29], v[42:43], v[28:29], s[84:85]
	v_fma_f64 v[28:29], v[42:43], v[28:29], s[86:87]
	v_writelane_b32 v127, s88, 18
	v_writelane_b32 v127, s89, 19
	v_fma_f64 v[28:29], v[42:43], v[28:29], s[88:89]
	v_writelane_b32 v127, s90, 20
	v_fma_f64 v[28:29], v[42:43], v[28:29], s[90:91]
	v_fma_f64 v[28:29], v[42:43], v[28:29], s[92:93]
	;; [unrolled: 1-line block ×3, first 2 shown]
	v_cmp_neq_f64_e64 vcc, |v[46:47]|, s[46:47]
	v_fma_f64 v[28:29], v[42:43], v[28:29], 1.0
	v_cndmask_b32_e32 v9, 0, v9, vcc
	v_cndmask_b32_e32 v8, 0, v8, vcc
	v_fma_f64 v[28:29], v[42:43], v[28:29], 1.0
	v_cvt_i32_f64_e32 v2, v[40:41]
	v_cmp_lt_f64_e32 vcc, s[50:51], v[46:47]
	v_ldexp_f64 v[28:29], v[28:29], v2
	s_and_b64 s[0:1], vcc, exec
	v_readfirstlane_b32 s0, v28
	v_mov_b32_e32 v28, s0
	s_cselect_b32 s6, 0, s0
	v_cmp_ngt_f64_e64 s[0:1], s[10:11], v[46:47]
	v_cndmask_b32_e32 v2, v29, v66, vcc
	s_and_b64 s[2:3], s[0:1], exec
	v_and_b32_e32 v29, 0x7fffffff, v29
	s_cselect_b32 s6, s6, 0
	v_cmp_eq_f64_e64 s[2:3], s[46:47], v[28:29]
	v_cndmask_b32_e64 v41, 0, v2, s[0:1]
	s_or_b64 s[2:3], vcc, s[2:3]
	v_mov_b32_e32 v40, s6
	v_pk_mov_b32 v[28:29], v[40:41], v[40:41] op_sel:[0,1]
	s_and_b64 vcc, s[0:1], s[2:3]
	v_fmac_f64_e32 v[28:29], v[28:29], v[8:9]
	s_and_b64 s[0:1], vcc, exec
	v_cndmask_b32_e32 v2, v29, v41, vcc
	v_readfirstlane_b32 s0, v28
	v_trunc_f64_e32 v[8:9], s[48:49]
	v_mul_f64 v[28:29], s[48:49], 0.5
	v_cmp_eq_f64_e32 vcc, s[48:49], v[8:9]
	v_trunc_f64_e32 v[8:9], v[28:29]
	s_cselect_b32 s6, s6, s0
	v_cmp_neq_f64_e64 s[0:1], v[8:9], v[28:29]
	s_and_b64 s[0:1], vcc, s[0:1]
	v_cndmask_b32_e64 v3, v67, v37, s[0:1]
	v_bfi_b32 v2, s52, v2, v3
	v_cndmask_b32_e32 v3, v120, v2, vcc
	s_and_b64 s[2:3], vcc, exec
	v_cmp_gt_f64_e32 vcc, 0, v[36:37]
	s_cselect_b32 s7, s6, 0
	s_and_b64 s[2:3], vcc, exec
	v_cndmask_b32_e32 v2, v2, v3, vcc
	v_cmp_class_f64_e64 s[2:3], v[36:37], s53
	v_cmp_eq_f64_e32 vcc, 0, v[36:37]
	s_cselect_b32 s8, s7, s6
	s_or_b64 s[2:3], vcc, s[2:3]
	s_and_b64 s[6:7], vcc, exec
	v_cndmask_b32_e64 v3, 0, v37, s[0:1]
	s_cselect_b32 s0, 0, 0x7ff00000
	s_brev_b32 s1, -2
	v_mov_b32_e32 v4, s0
	v_bfi_b32 v3, s1, v4, v3
	s_and_b64 s[0:1], s[2:3], exec
	v_cmp_o_f64_e32 vcc, v[36:37], v[36:37]
	v_cndmask_b32_e64 v2, v2, v3, s[2:3]
	s_cselect_b32 s2, 0, s8
	s_and_b64 s[0:1], vcc, exec
	v_mov_b32_e32 v38, s70
	s_cselect_b32 s0, s2, 0
	s_mov_b32 s2, 0
	v_fma_f64 v[8:9], v[38:39], v[30:31], 1.0
	v_cndmask_b32_e32 v29, v120, v2, vcc
	v_mov_b32_e32 v28, s0
	s_mov_b32 s3, 0x40080000
	v_add_f64 v[8:9], v[28:29], v[8:9]
	v_pk_mov_b32 v[28:29], s[2:3], s[2:3] op_sel:[0,1]
	v_mul_f64 v[28:29], s[12:13], v[28:29]
	v_mul_f64 v[30:31], v[8:9], v[8:9]
	s_mov_b32 s6, 0
	v_fmac_f64_e32 v[30:31], s[12:13], v[28:29]
	s_brev_b32 s7, 8
	v_cmp_gt_f64_e32 vcc, s[6:7], v[30:31]
	v_cndmask_b32_e64 v2, 0, 1, vcc
	v_lshlrev_b32_e32 v2, 8, v2
	v_ldexp_f64 v[28:29], v[30:31], v2
	v_rsq_f64_e32 v[30:31], v[28:29]
	s_and_b64 s[0:1], vcc, exec
	s_cselect_b32 s0, 0xffffff80, 0
	v_cmp_class_f64_e32 vcc, v[28:29], v100
	v_mul_f64 v[36:37], v[28:29], v[30:31]
	v_mul_f64 v[30:31], v[30:31], 0.5
	v_fma_f64 v[38:39], -v[30:31], v[36:37], 0.5
	v_fmac_f64_e32 v[36:37], v[36:37], v[38:39]
	v_fma_f64 v[40:41], -v[36:37], v[36:37], v[28:29]
	v_fmac_f64_e32 v[30:31], v[30:31], v[38:39]
	v_fmac_f64_e32 v[36:37], v[40:41], v[30:31]
	v_fma_f64 v[38:39], -v[36:37], v[36:37], v[28:29]
	v_fmac_f64_e32 v[36:37], v[38:39], v[30:31]
	v_ldexp_f64 v[30:31], v[36:37], s0
	v_cndmask_b32_e32 v29, v31, v29, vcc
	v_cndmask_b32_e32 v28, v30, v28, vcc
	v_add_f64 v[30:31], -v[8:9], s[2:3]
	v_add_f64 v[8:9], v[8:9], s[2:3]
	v_fmac_f64_e32 v[8:9], 2.0, v[28:29]
	v_mul_f64 v[8:9], v[30:31], v[8:9]
	v_mul_f64 v[30:31], v[12:13], v[12:13]
	v_mul_f64 v[36:37], v[30:31], 0.5
	v_fma_f64 v[20:21], s[22:23], v[30:31], v[20:21]
	v_add_f64 v[38:39], -v[36:37], 1.0
	v_fma_f64 v[20:21], v[30:31], v[20:21], s[24:25]
	v_add_f64 v[40:41], -v[38:39], 1.0
	v_fma_f64 v[20:21], v[30:31], v[20:21], s[26:27]
	v_add_f64 v[36:37], v[40:41], -v[36:37]
	v_fma_f64 v[20:21], v[30:31], v[20:21], s[28:29]
	v_fma_f64 v[22:23], s[38:39], v[30:31], v[22:23]
	v_mul_f64 v[40:41], v[30:31], v[30:31]
	v_fma_f64 v[20:21], v[30:31], v[20:21], s[30:31]
	v_fma_f64 v[36:37], v[12:13], -v[54:55], v[36:37]
	v_fma_f64 v[22:23], v[30:31], v[22:23], s[40:41]
	v_fmac_f64_e32 v[36:37], v[40:41], v[20:21]
	v_fma_f64 v[22:23], v[30:31], v[22:23], s[42:43]
	v_add_f64 v[20:21], v[38:39], v[36:37]
	v_fma_f64 v[22:23], v[30:31], v[22:23], s[44:45]
	v_mul_f64 v[36:37], v[12:13], -v[30:31]
	v_mul_f64 v[38:39], v[54:55], 0.5
	v_fmac_f64_e32 v[38:39], v[36:37], v[22:23]
	v_fma_f64 v[22:23], v[30:31], v[38:39], -v[54:55]
	v_cmp_gt_f64_e64 s[0:1], s[6:7], v[8:9]
	v_fmac_f64_e32 v[22:23], s[34:35], v[36:37]
	v_and_b32_e32 v2, 1, v87
	v_cndmask_b32_e64 v4, 0, 1, s[0:1]
	v_add_f64 v[12:13], v[12:13], -v[22:23]
	v_cmp_eq_u32_e32 vcc, 0, v2
	v_lshlrev_b32_e32 v4, 8, v4
	v_cndmask_b32_e32 v2, v20, v12, vcc
	v_cndmask_b32_e32 v3, v21, v13, vcc
	v_ldexp_f64 v[12:13], v[8:9], v4
	v_lshlrev_b32_e32 v4, 30, v87
	v_xor_b32_e32 v4, v4, v103
	v_and_b32_e32 v4, 0x80000000, v4
	v_xor_b32_e32 v3, v3, v4
	buffer_load_dword v4, off, s[96:99], 0 offset:368 ; 4-byte Folded Reload
	buffer_load_dword v5, off, s[96:99], 0 offset:372 ; 4-byte Folded Reload
	v_rsq_f64_e32 v[8:9], v[12:13]
	v_div_fixup_f64 v[18:19], v[18:19], v[0:1], -v[10:11]
	v_div_fixup_f64 v[10:11], v[26:27], v[0:1], -v[16:17]
	v_fmac_f64_e32 v[24:25], -2.0, v[118:119]
	v_mul_f64 v[22:23], v[12:13], v[8:9]
	v_mul_f64 v[16:17], v[8:9], 0.5
	v_fma_f64 v[8:9], -v[16:17], v[22:23], 0.5
	v_fmac_f64_e32 v[22:23], v[22:23], v[8:9]
	v_fma_f64 v[26:27], -v[22:23], v[22:23], v[12:13]
	v_fmac_f64_e32 v[16:17], v[16:17], v[8:9]
	v_fmac_f64_e32 v[22:23], v[26:27], v[16:17]
	v_add_f64 v[26:27], v[6:7], v[24:25]
	v_mul_f64 v[30:31], v[0:1], v[10:11]
	v_add_f64 v[20:21], v[28:29], s[2:3]
	v_div_scale_f64 v[36:37], s[2:3], v[26:27], v[26:27], v[30:31]
	v_rcp_f64_e32 v[38:39], v[36:37]
	v_mul_f64 v[10:11], v[10:11], v[10:11]
	v_div_fixup_f64 v[14:15], v[14:15], v[56:57], v[44:45]
	v_div_scale_f64 v[44:45], s[2:3], v[26:27], v[26:27], v[10:11]
	v_fma_f64 v[40:41], -v[36:37], v[38:39], 1.0
	v_fmac_f64_e32 v[38:39], v[38:39], v[40:41]
	v_fma_f64 v[40:41], -v[36:37], v[38:39], 1.0
	v_rcp_f64_e32 v[46:47], v[44:45]
	v_fmac_f64_e32 v[38:39], v[38:39], v[40:41]
	v_div_scale_f64 v[40:41], vcc, v[30:31], v[26:27], v[30:31]
	v_mul_f64 v[42:43], v[40:41], v[38:39]
	v_fma_f64 v[36:37], -v[36:37], v[42:43], v[40:41]
	v_cndmask_b32_e64 v8, 0, v2, s[4:5]
	s_nop 0
	v_div_fmas_f64 v[36:37], v[36:37], v[38:39], v[42:43]
	v_fma_f64 v[38:39], -v[44:45], v[46:47], 1.0
	v_fmac_f64_e32 v[46:47], v[46:47], v[38:39]
	v_fma_f64 v[38:39], -v[44:45], v[46:47], 1.0
	v_fmac_f64_e32 v[46:47], v[46:47], v[38:39]
	v_div_scale_f64 v[38:39], vcc, v[10:11], v[26:27], v[10:11]
	v_mul_f64 v[40:41], v[38:39], v[46:47]
	v_cndmask_b32_e64 v9, v120, v3, s[4:5]
	v_fma_f64 v[38:39], -v[44:45], v[40:41], v[38:39]
	v_mul_f64 v[8:9], v[8:9], v[8:9]
	v_div_fmas_f64 v[38:39], v[38:39], v[46:47], v[40:41]
	v_div_fixup_f64 v[10:11], v[38:39], v[26:27], v[10:11]
	v_mul_f64 v[38:39], v[26:27], v[8:9]
	v_mul_f64 v[38:39], v[14:15], v[38:39]
	s_mov_b32 s8, 0
	v_fma_f64 v[24:25], -2.0, v[118:119], v[0:1]
	v_fmac_f64_e32 v[10:11], v[18:19], v[18:19]
	v_mul_f64 v[38:39], v[14:15], v[38:39]
	s_brev_b32 s9, 8
	v_fmac_f64_e32 v[38:39], v[24:25], v[10:11]
	v_cmp_gt_f64_e32 vcc, s[8:9], v[38:39]
	v_cndmask_b32_e64 v2, 0, 1, vcc
	v_lshlrev_b32_e32 v2, 8, v2
	v_ldexp_f64 v[38:39], v[38:39], v2
	v_rsq_f64_e32 v[40:41], v[38:39]
	v_fma_f64 v[28:29], -v[22:23], v[22:23], v[12:13]
	v_fmac_f64_e32 v[22:23], v[28:29], v[16:17]
	v_div_fixup_f64 v[10:11], v[36:37], v[26:27], v[30:31]
	v_mul_f64 v[16:17], v[38:39], v[40:41]
	v_mul_f64 v[28:29], v[40:41], 0.5
	v_fma_f64 v[30:31], -v[28:29], v[16:17], 0.5
	v_fmac_f64_e32 v[16:17], v[16:17], v[30:31]
	v_fma_f64 v[36:37], -v[16:17], v[16:17], v[38:39]
	v_fmac_f64_e32 v[28:29], v[28:29], v[30:31]
	v_fmac_f64_e32 v[16:17], v[36:37], v[28:29]
	v_fma_f64 v[30:31], -v[16:17], v[16:17], v[38:39]
	v_fmac_f64_e32 v[16:17], v[30:31], v[28:29]
	v_cndmask_b32_e32 v2, 0, v91, vcc
	v_ldexp_f64 v[16:17], v[16:17], v2
	v_cmp_class_f64_e32 vcc, v[38:39], v100
	v_cndmask_b32_e32 v17, v17, v39, vcc
	v_cndmask_b32_e32 v16, v16, v38, vcc
	s_and_b64 s[0:1], s[0:1], exec
	v_div_scale_f64 v[28:29], s[0:1], v[16:17], v[16:17], v[10:11]
	v_rcp_f64_e32 v[30:31], v[28:29]
	s_cselect_b32 s0, 0xffffff80, 0
	v_mul_f64 v[18:19], v[0:1], v[18:19]
	v_ldexp_f64 v[36:37], v[22:23], s0
	v_fma_f64 v[22:23], -v[28:29], v[30:31], 1.0
	v_div_scale_f64 v[40:41], s[0:1], v[16:17], v[16:17], v[18:19]
	v_fmac_f64_e32 v[30:31], v[30:31], v[22:23]
	v_rcp_f64_e32 v[42:43], v[40:41]
	v_mul_f64 v[0:1], v[26:27], v[0:1]
	s_waitcnt vmcnt(0)
	v_mul_f64 v[26:27], v[4:5], v[118:119]
	v_fma_f64 v[22:23], -v[28:29], v[30:31], 1.0
	v_mul_f64 v[26:27], v[26:27], v[16:17]
	v_fmac_f64_e32 v[30:31], v[30:31], v[22:23]
	v_div_scale_f64 v[22:23], vcc, v[10:11], v[16:17], v[10:11]
	v_fma_f64 v[0:1], v[0:1], v[14:15], -v[26:27]
	v_mul_f64 v[38:39], v[22:23], v[30:31]
	v_mul_f64 v[14:15], v[8:9], v[0:1]
	v_fma_f64 v[22:23], -v[28:29], v[38:39], v[22:23]
	v_fma_f64 v[28:29], -v[40:41], v[42:43], 1.0
	v_div_scale_f64 v[26:27], s[0:1], v[24:25], v[24:25], v[14:15]
	v_div_fmas_f64 v[22:23], v[22:23], v[30:31], v[38:39]
	v_fmac_f64_e32 v[42:43], v[42:43], v[28:29]
	v_rcp_f64_e32 v[38:39], v[26:27]
	v_fma_f64 v[28:29], -v[40:41], v[42:43], 1.0
	v_fmac_f64_e32 v[42:43], v[42:43], v[28:29]
	v_div_scale_f64 v[28:29], vcc, v[18:19], v[16:17], v[18:19]
	v_mul_f64 v[30:31], v[28:29], v[42:43]
	v_fma_f64 v[0:1], -v[40:41], v[30:31], v[28:29]
	v_fma_f64 v[28:29], -v[26:27], v[38:39], 1.0
	v_fmac_f64_e32 v[38:39], v[38:39], v[28:29]
	v_fma_f64 v[28:29], -v[26:27], v[38:39], 1.0
	v_div_fmas_f64 v[0:1], v[0:1], v[42:43], v[30:31]
	v_fmac_f64_e32 v[38:39], v[38:39], v[28:29]
	v_div_scale_f64 v[28:29], vcc, v[14:15], v[24:25], v[14:15]
	v_mul_f64 v[30:31], v[28:29], v[38:39]
	v_fma_f64 v[26:27], -v[26:27], v[30:31], v[28:29]
	v_writelane_b32 v127, s91, 21
	s_nop 0
	v_div_fmas_f64 v[26:27], v[26:27], v[38:39], v[30:31]
	v_div_fixup_f64 v[14:15], v[26:27], v[24:25], v[14:15]
	v_div_scale_f64 v[24:25], s[0:1], v[16:17], v[16:17], v[14:15]
	v_rcp_f64_e32 v[26:27], v[24:25]
	v_cmp_class_f64_e32 vcc, v[12:13], v100
	v_cndmask_b32_e32 v29, v37, v13, vcc
	v_cndmask_b32_e32 v28, v36, v12, vcc
	v_fma_f64 v[12:13], -v[24:25], v[26:27], 1.0
	v_fmac_f64_e32 v[26:27], v[26:27], v[12:13]
	v_fma_f64 v[12:13], -v[24:25], v[26:27], 1.0
	v_fmac_f64_e32 v[26:27], v[26:27], v[12:13]
	v_div_scale_f64 v[12:13], vcc, v[14:15], v[16:17], v[14:15]
	v_mul_f64 v[30:31], v[12:13], v[26:27]
	v_fma_f64 v[12:13], -v[24:25], v[30:31], v[12:13]
	v_add_f64 v[20:21], v[20:21], -v[28:29]
	s_nop 0
	v_div_fmas_f64 v[12:13], v[12:13], v[26:27], v[30:31]
	v_div_fixup_f64 v[12:13], v[12:13], v[16:17], v[14:15]
	v_mul_f64 v[14:15], v[12:13], v[12:13]
	v_div_scale_f64 v[24:25], s[0:1], v[8:9], v[8:9], v[14:15]
	v_rcp_f64_e32 v[26:27], v[24:25]
	v_cvt_f32_f64_e32 v2, v[20:21]
	v_cvt_f64_f32_e32 v[50:51], v2
	v_lshl_add_u32 v2, v79, 10, v78
	v_fma_f64 v[20:21], -v[24:25], v[26:27], 1.0
	v_fmac_f64_e32 v[26:27], v[26:27], v[20:21]
	v_fma_f64 v[20:21], -v[24:25], v[26:27], 1.0
	v_fmac_f64_e32 v[26:27], v[26:27], v[20:21]
	v_div_scale_f64 v[20:21], vcc, v[14:15], v[8:9], v[14:15]
	v_mul_f64 v[28:29], v[20:21], v[26:27]
	v_fma_f64 v[20:21], -v[24:25], v[28:29], v[20:21]
	v_lshl_add_u32 v46, v2, 1, v2
	s_nop 0
	v_div_fmas_f64 v[24:25], v[20:21], v[26:27], v[28:29]
	v_cmp_gt_f64_e32 vcc, s[8:9], v[50:51]
	v_cndmask_b32_e64 v3, 0, 1, vcc
	v_lshlrev_b32_e32 v3, 8, v3
	v_ldexp_f64 v[28:29], v[50:51], v3
	v_rsq_f64_e32 v[30:31], v[28:29]
	v_mov_b32_e32 v20, 0
	v_mov_b32_e32 v47, v20
	v_readlane_b32 s2, v127, 2
	v_mul_f64 v[38:39], v[28:29], v[30:31]
	v_mul_f64 v[30:31], v[30:31], 0.5
	v_fma_f64 v[40:41], -v[30:31], v[38:39], 0.5
	v_fmac_f64_e32 v[38:39], v[38:39], v[40:41]
	v_lshlrev_b64 v[26:27], 3, v[46:47]
	v_readlane_b32 s3, v127, 3
	v_fma_f64 v[42:43], -v[38:39], v[38:39], v[28:29]
	v_fmac_f64_e32 v[30:31], v[30:31], v[40:41]
	v_mov_b32_e32 v2, s3
	v_add_co_u32_e64 v36, s[0:1], s2, v26
	v_fmac_f64_e32 v[38:39], v[42:43], v[30:31]
	v_addc_co_u32_e64 v37, s[0:1], v2, v27, s[0:1]
	v_fma_f64 v[40:41], -v[38:39], v[38:39], v[28:29]
	s_and_b64 s[0:1], vcc, exec
	v_mul_f64 v[26:27], v[50:51], v[50:51]
	v_fmac_f64_e32 v[38:39], v[40:41], v[30:31]
	s_cselect_b32 s0, 0xffffff80, 0
	v_ldexp_f64 v[30:31], v[38:39], s0
	v_mul_f64 v[38:39], v[26:27], v[50:51]
	v_cmp_gt_f64_e64 s[0:1], s[8:9], v[38:39]
	v_cndmask_b32_e64 v3, 0, 1, s[0:1]
	v_lshlrev_b32_e32 v3, 8, v3
	v_ldexp_f64 v[40:41], v[38:39], v3
	v_rsq_f64_e32 v[42:43], v[40:41]
	v_cmp_class_f64_e32 vcc, v[28:29], v100
	v_cndmask_b32_e32 v29, v31, v29, vcc
	v_cndmask_b32_e32 v28, v30, v28, vcc
	v_fma_f64 v[26:27], -v[4:5], v[28:29], v[26:27]
	v_add_f64 v[38:39], v[6:7], v[26:27]
	v_mul_f64 v[26:27], v[40:41], v[42:43]
	v_mul_f64 v[30:31], v[42:43], 0.5
	v_fma_f64 v[42:43], -v[30:31], v[26:27], 0.5
	v_fmac_f64_e32 v[26:27], v[26:27], v[42:43]
	v_fma_f64 v[44:45], -v[26:27], v[26:27], v[40:41]
	v_fmac_f64_e32 v[30:31], v[30:31], v[42:43]
	v_fmac_f64_e32 v[26:27], v[44:45], v[30:31]
	v_fma_f64 v[42:43], -v[26:27], v[26:27], v[40:41]
	s_and_b64 s[0:1], s[0:1], exec
	v_fmac_f64_e32 v[26:27], v[42:43], v[30:31]
	s_cselect_b32 s0, 0xffffff80, 0
	v_ldexp_f64 v[26:27], v[26:27], s0
	v_cmp_class_f64_e32 vcc, v[40:41], v100
	v_cndmask_b32_e32 v27, v27, v41, vcc
	v_cndmask_b32_e32 v26, v26, v40, vcc
	v_fmac_f64_e32 v[26:27], -2.0, v[28:29]
	v_add_f64 v[40:41], s[12:13], v[26:27]
	v_div_scale_f64 v[26:27], s[0:1], v[40:41], v[40:41], v[38:39]
	v_rcp_f64_e32 v[28:29], v[26:27]
	v_mov_b32_e32 v30, v46
	buffer_store_dword v30, off, s[96:99], 0 offset:464 ; 4-byte Folded Spill
	s_nop 0
	buffer_store_dword v31, off, s[96:99], 0 offset:468 ; 4-byte Folded Spill
	v_add_u32_e32 v30, 1, v46
	v_fma_f64 v[42:43], -v[26:27], v[28:29], 1.0
	v_fmac_f64_e32 v[28:29], v[28:29], v[42:43]
	v_div_scale_f64 v[46:47], s[0:1], v[50:51], v[50:51], s[56:57]
	v_fma_f64 v[42:43], -v[26:27], v[28:29], 1.0
	v_rcp_f64_e32 v[48:49], v[46:47]
	v_fmac_f64_e32 v[28:29], v[28:29], v[42:43]
	v_div_scale_f64 v[42:43], vcc, v[38:39], v[40:41], v[38:39]
	v_mul_f64 v[44:45], v[42:43], v[28:29]
	v_fma_f64 v[26:27], -v[26:27], v[44:45], v[42:43]
	v_mov_b32_e32 v31, v20
	s_nop 0
	v_div_fmas_f64 v[42:43], v[26:27], v[28:29], v[44:45]
	v_fma_f64 v[26:27], -v[46:47], v[48:49], 1.0
	v_fmac_f64_e32 v[48:49], v[48:49], v[26:27]
	v_fma_f64 v[26:27], -v[46:47], v[48:49], 1.0
	v_fmac_f64_e32 v[48:49], v[48:49], v[26:27]
	v_div_scale_f64 v[26:27], vcc, s[56:57], v[50:51], s[56:57]
	buffer_store_dword v50, off, s[96:99], 0 offset:376 ; 4-byte Folded Spill
	s_nop 0
	buffer_store_dword v51, off, s[96:99], 0 offset:380 ; 4-byte Folded Spill
	v_mul_f64 v[28:29], v[26:27], v[48:49]
	v_fma_f64 v[26:27], -v[46:47], v[28:29], v[26:27]
	v_div_fmas_f64 v[26:27], v[26:27], v[48:49], v[28:29]
	s_mov_b32 s1, s57
	v_lshlrev_b64 v[30:31], 3, v[30:31]
	v_writelane_b32 v127, s0, 22
	v_writelane_b32 v127, s1, 23
	v_add_co_u32_e64 v30, s[0:1], s2, v30
	v_addc_co_u32_e64 v31, s[0:1], v2, v31, s[0:1]
	v_mov_b32_e32 v72, 0
	s_mov_b32 s20, 0
	s_mov_b32 s64, 0
	s_mov_b32 s14, 0x54442d18
	s_mov_b32 s80, 0x6dc9c883
	s_mov_b32 s82, 0x33145c00
	s_mov_b32 s88, 0x252049c0
	s_mov_b32 s90, 0xe2308c3a
	s_mov_b32 s84, 0x9999999a
	s_mov_b32 s92, 0x33333333
	s_mov_b32 s62, 0xcccccccd
	s_mov_b32 s94, 0x84bda12f
	s_mov_b32 s58, 0x2f684bda
	s_mov_b32 s66, 0xed097b42
	s_mov_b32 s60, 0x5ed097b4
	s_mov_b32 s68, 0x65965970
	s_mov_b32 s70, 0x9af15610
	s_mov_b32 s50, 0x8676f310
	s_mov_b32 s48, 0x92492492
	s_mov_b32 s18, 0x2ed5a580
	v_mov_b32_e32 v126, 0x3ff00000
	s_movk_i32 s37, 0x204
	s_movk_i32 s36, 0xff80
	v_mov_b32_e32 v73, 0x3fe00000
	v_mov_b32_e32 v121, 0x3c9cd2b2
	;; [unrolled: 1-line block ×4, first 2 shown]
	s_mov_b32 s21, 0x41d00000
	s_mov_b32 s65, 0x7b000000
	;; [unrolled: 1-line block ×27, first 2 shown]
	v_div_fixup_f64 v[26:27], v[26:27], v[50:51], s[56:57]
	v_add_f64 v[28:29], -v[26:27], 1.0
	v_cmp_gt_f64_e32 vcc, s[8:9], v[28:29]
	v_cndmask_b32_e64 v3, 0, 1, vcc
	v_lshlrev_b32_e32 v3, 8, v3
	v_ldexp_f64 v[28:29], v[28:29], v3
	v_rsq_f64_e32 v[44:45], v[28:29]
	s_and_b64 s[0:1], vcc, exec
	v_cmp_gt_f64_e32 vcc, s[8:9], v[26:27]
	v_cndmask_b32_e64 v2, 0, 1, vcc
	v_mul_f64 v[46:47], v[28:29], v[44:45]
	v_mul_f64 v[44:45], v[44:45], 0.5
	v_fma_f64 v[48:49], -v[44:45], v[46:47], 0.5
	v_fmac_f64_e32 v[46:47], v[46:47], v[48:49]
	v_fma_f64 v[50:51], -v[46:47], v[46:47], v[28:29]
	v_fmac_f64_e32 v[44:45], v[44:45], v[48:49]
	v_fmac_f64_e32 v[46:47], v[50:51], v[44:45]
	v_fma_f64 v[48:49], -v[46:47], v[46:47], v[28:29]
	v_lshlrev_b32_e32 v2, 8, v2
	v_fmac_f64_e32 v[46:47], v[48:49], v[44:45]
	s_cselect_b32 s0, 0xffffff80, 0
	v_ldexp_f64 v[26:27], v[26:27], v2
	v_ldexp_f64 v[44:45], v[46:47], s0
	v_rsq_f64_e32 v[46:47], v[26:27]
	v_cmp_class_f64_e64 s[0:1], v[28:29], v100
	v_cndmask_b32_e64 v3, v45, v29, s[0:1]
	v_cndmask_b32_e64 v2, v44, v28, s[0:1]
	v_mul_f64 v[28:29], v[26:27], v[46:47]
	v_mul_f64 v[44:45], v[46:47], 0.5
	v_fma_f64 v[46:47], -v[44:45], v[28:29], 0.5
	v_fmac_f64_e32 v[28:29], v[28:29], v[46:47]
	v_fma_f64 v[48:49], -v[28:29], v[28:29], v[26:27]
	v_fmac_f64_e32 v[44:45], v[44:45], v[46:47]
	v_fmac_f64_e32 v[28:29], v[48:49], v[44:45]
	v_fma_f64 v[46:47], -v[28:29], v[28:29], v[26:27]
	s_and_b64 s[0:1], vcc, exec
	v_fmac_f64_e32 v[28:29], v[46:47], v[44:45]
	s_cselect_b32 s0, 0xffffff80, 0
	buffer_store_dword v2, off, s[96:99], 0 offset:384 ; 4-byte Folded Spill
	s_nop 0
	buffer_store_dword v3, off, s[96:99], 0 offset:388 ; 4-byte Folded Spill
	v_ldexp_f64 v[28:29], v[28:29], s0
	v_cmp_class_f64_e32 vcc, v[26:27], v100
	v_cndmask_b32_e32 v3, v29, v27, vcc
	v_cndmask_b32_e32 v2, v28, v26, vcc
	v_div_fixup_f64 v[28:29], v[0:1], v[16:17], v[18:19]
	v_mul_f64 v[0:1], v[28:29], v[28:29]
	v_fmac_f64_e32 v[0:1], v[6:7], v[8:9]
	v_div_fixup_f64 v[8:9], v[24:25], v[8:9], v[14:15]
	v_add_f64 v[112:113], v[0:1], v[8:9]
	v_div_fixup_f64 v[0:1], v[42:43], v[40:41], v[38:39]
	buffer_store_dword v2, off, s[96:99], 0 offset:392 ; 4-byte Folded Spill
	s_nop 0
	buffer_store_dword v3, off, s[96:99], 0 offset:396 ; 4-byte Folded Spill
	global_store_dwordx2 v[36:37], v[34:35], off
	global_store_dwordx2 v[30:31], v[32:33], off
	buffer_store_dword v12, off, s[96:99], 0 offset:24 ; 4-byte Folded Spill
	s_nop 0
	buffer_store_dword v13, off, s[96:99], 0 offset:28 ; 4-byte Folded Spill
	buffer_store_dword v0, off, s[96:99], 0 offset:400 ; 4-byte Folded Spill
	s_nop 0
	buffer_store_dword v1, off, s[96:99], 0 offset:404 ; 4-byte Folded Spill
	s_mov_b64 s[0:1], 0
	v_writelane_b32 v127, s0, 24
	v_writelane_b32 v127, s1, 25
	s_mov_b32 s1, 0x3feccccc
	v_writelane_b32 v127, s0, 26
	v_writelane_b32 v127, s1, 27
	s_mov_b32 s1, 0x3fb99999
	;; [unrolled: 3-line block ×3, first 2 shown]
	v_pk_mov_b32 v[2:3], 0, 0
	s_mov_b32 s56, 0x12f684be
	v_writelane_b32 v127, s0, 30
	v_div_fixup_f64 v[26:27], v[22:23], v[16:17], v[10:11]
	v_mov_b32_e32 v30, 0xe2308c3a
	s_mov_b32 s57, 0x3fa54bda
	v_writelane_b32 v127, s1, 31
	v_mul_f64 v[116:117], v[4:5], v[12:13]
	v_mul_f64 v[0:1], s[12:13], v[0:1]
	buffer_store_dword v0, off, s[96:99], 0 offset:408 ; 4-byte Folded Spill
	s_nop 0
	buffer_store_dword v1, off, s[96:99], 0 offset:412 ; 4-byte Folded Spill
	v_mov_b32_e32 v0, 0x9037ab78
	v_mov_b32_e32 v1, 0x3e21eeb6
	buffer_store_dword v0, off, s[96:99], 0 offset:128 ; 4-byte Folded Spill
	s_nop 0
	buffer_store_dword v1, off, s[96:99], 0 offset:132 ; 4-byte Folded Spill
	v_mov_b32_e32 v0, 0xa17f65f6
	v_mov_b32_e32 v1, 0xbe927e4f
	;; [unrolled: 5-line block ×22, first 2 shown]
	buffer_store_dword v0, off, s[96:99], 0 offset:336 ; 4-byte Folded Spill
	s_nop 0
	buffer_store_dword v1, off, s[96:99], 0 offset:340 ; 4-byte Folded Spill
	v_mov_b32_e32 v0, 0x11122322
	buffer_store_dword v0, off, s[96:99], 0 offset:208 ; 4-byte Folded Spill
	s_nop 0
	buffer_store_dword v1, off, s[96:99], 0 offset:212 ; 4-byte Folded Spill
	v_mov_b32_e32 v0, 0x555502a1
	;; [unrolled: 4-line block ×3, first 2 shown]
	v_mov_b32_e32 v1, 0x3fc55555
	buffer_store_dword v0, off, s[96:99], 0 offset:248 ; 4-byte Folded Spill
	s_nop 0
	buffer_store_dword v1, off, s[96:99], 0 offset:252 ; 4-byte Folded Spill
	v_mov_b32_e32 v0, 11
	v_mov_b32_e32 v1, 0x3fe00000
	buffer_store_dword v0, off, s[96:99], 0 offset:344 ; 4-byte Folded Spill
	s_nop 0
	buffer_store_dword v1, off, s[96:99], 0 offset:348 ; 4-byte Folded Spill
	v_mov_b32_e32 v0, 0x6b47b09a
	;; [unrolled: 5-line block ×5, first 2 shown]
	buffer_store_dword v0, off, s[96:99], 0 offset:416 ; 4-byte Folded Spill
	s_nop 0
	buffer_store_dword v1, off, s[96:99], 0 offset:420 ; 4-byte Folded Spill
	v_mov_b32_e32 v0, 0x55555780
	v_mov_b32_e32 v1, 0x3fe55555
	buffer_store_dword v0, off, s[96:99], 0 offset:456 ; 4-byte Folded Spill
	s_nop 0
	buffer_store_dword v1, off, s[96:99], 0 offset:460 ; 4-byte Folded Spill
	v_mov_b32_e32 v0, 0x998ef7b6
	buffer_store_dword v0, off, s[96:99], 0 offset:424 ; 4-byte Folded Spill
	s_nop 0
	buffer_store_dword v1, off, s[96:99], 0 offset:428 ; 4-byte Folded Spill
	v_pk_mov_b32 v[0:1], v[2:3], v[2:3] op_sel:[0,1]
	buffer_store_dword v2, off, s[96:99], 0 offset:200 ; 4-byte Folded Spill
	s_nop 0
	buffer_store_dword v3, off, s[96:99], 0 offset:204 ; 4-byte Folded Spill
	buffer_store_dword v2, off, s[96:99], 0 offset:360 ; 4-byte Folded Spill
	s_nop 0
	buffer_store_dword v3, off, s[96:99], 0 offset:364 ; 4-byte Folded Spill
	buffer_store_dword v112, off, s[96:99], 0 ; 4-byte Folded Spill
	s_nop 0
	buffer_store_dword v113, off, s[96:99], 0 offset:4 ; 4-byte Folded Spill
	buffer_store_dword v116, off, s[96:99], 0 offset:8 ; 4-byte Folded Spill
	s_nop 0
	buffer_store_dword v117, off, s[96:99], 0 offset:12 ; 4-byte Folded Spill
	s_branch .LBB1_79
.LBB1_77:                               ;   in Loop: Header=BB1_79 Depth=1
	s_or_b64 exec, exec, s[0:1]
	s_mov_b32 s0, 0x9037ab78
	s_mov_b32 s1, 0x3e21eeb6
	v_mul_f64 v[2:3], v[60:61], v[60:61]
	v_pk_mov_b32 v[38:39], s[0:1], s[0:1] op_sel:[0,1]
	v_mul_f64 v[4:5], v[2:3], 0.5
	v_fma_f64 v[32:33], s[22:23], v[2:3], v[38:39]
	v_add_f64 v[8:9], -v[4:5], 1.0
	v_fma_f64 v[32:33], v[2:3], v[32:33], s[24:25]
	v_add_f64 v[12:13], -v[8:9], 1.0
	v_fma_f64 v[32:33], v[2:3], v[32:33], s[26:27]
	v_add_f64 v[4:5], v[12:13], -v[4:5]
	v_fma_f64 v[32:33], v[2:3], v[32:33], s[28:29]
	s_mov_b32 s0, 0xb42fdfa7
	v_mul_f64 v[12:13], v[2:3], v[2:3]
	v_fma_f64 v[32:33], v[2:3], v[32:33], s[30:31]
	v_fma_f64 v[4:5], v[60:61], -v[52:53], v[4:5]
	s_mov_b32 s1, 0xbe5ae600
	v_fmac_f64_e32 v[4:5], v[12:13], v[32:33]
	v_pk_mov_b32 v[40:41], s[0:1], s[0:1] op_sel:[0,1]
	v_add_f64 v[4:5], v[8:9], v[4:5]
	v_fma_f64 v[8:9], s[38:39], v[2:3], v[40:41]
	v_fma_f64 v[8:9], v[2:3], v[8:9], s[40:41]
	;; [unrolled: 1-line block ×4, first 2 shown]
	v_mul_f64 v[12:13], v[60:61], -v[2:3]
	v_mul_f64 v[32:33], v[52:53], 0.5
	v_fmac_f64_e32 v[32:33], v[12:13], v[8:9]
	v_fma_f64 v[2:3], v[2:3], v[32:33], -v[52:53]
	v_fmac_f64_e32 v[2:3], s[34:35], v[12:13]
	v_and_b32_e32 v8, 1, v47
	v_add_f64 v[2:3], v[60:61], -v[2:3]
	v_cmp_eq_u32_e32 vcc, 0, v8
	v_xor_b32_e32 v3, 0x80000000, v3
	v_cndmask_b32_e32 v2, v2, v4, vcc
	v_lshlrev_b32_e32 v4, 30, v47
	v_cndmask_b32_e32 v3, v3, v5, vcc
	v_and_b32_e32 v4, 0x80000000, v4
	v_cmp_class_f64_e64 s[8:9], v[102:103], s33
	v_xor_b32_e32 v3, v3, v4
	v_cndmask_b32_e64 v2, 0, v2, s[8:9]
	v_cndmask_b32_e64 v3, v120, v3, s[8:9]
	v_mul_f64 v[8:9], v[118:119], v[2:3]
	v_and_b32_e32 v2, 1, v45
	v_cmp_eq_u32_e32 vcc, 0, v2
	v_mul_f64 v[2:3], v[10:11], v[10:11]
	v_mul_f64 v[4:5], v[2:3], 0.5
	v_fma_f64 v[36:37], s[22:23], v[2:3], v[38:39]
	v_add_f64 v[12:13], -v[4:5], 1.0
	v_fma_f64 v[36:37], v[2:3], v[36:37], s[24:25]
	v_fma_f64 v[36:37], v[2:3], v[36:37], s[26:27]
	v_add_f64 v[48:49], -v[12:13], 1.0
	v_fma_f64 v[36:37], v[2:3], v[36:37], s[28:29]
	v_add_f64 v[4:5], v[48:49], -v[4:5]
	v_mul_f64 v[32:33], v[2:3], v[2:3]
	v_fma_f64 v[36:37], v[2:3], v[36:37], s[30:31]
	v_fma_f64 v[4:5], v[10:11], -v[34:35], v[4:5]
	v_fmac_f64_e32 v[4:5], v[32:33], v[36:37]
	v_fma_f64 v[32:33], s[38:39], v[2:3], v[40:41]
	v_fma_f64 v[32:33], v[2:3], v[32:33], s[40:41]
	;; [unrolled: 1-line block ×3, first 2 shown]
	v_add_f64 v[4:5], v[12:13], v[4:5]
	v_mul_f64 v[12:13], v[10:11], -v[2:3]
	v_fma_f64 v[32:33], v[2:3], v[32:33], s[44:45]
	v_mul_f64 v[36:37], v[34:35], 0.5
	v_fmac_f64_e32 v[36:37], v[12:13], v[32:33]
	v_fma_f64 v[2:3], v[2:3], v[36:37], -v[34:35]
	v_fmac_f64_e32 v[2:3], s[34:35], v[12:13]
	v_add_f64 v[2:3], v[10:11], -v[2:3]
	v_xor_b32_e32 v3, 0x80000000, v3
	v_cndmask_b32_e32 v2, v2, v4, vcc
	v_lshlrev_b32_e32 v4, 30, v45
	v_cndmask_b32_e32 v3, v3, v5, vcc
	v_and_b32_e32 v4, 0x80000000, v4
	v_xor_b32_e32 v3, v3, v4
	v_and_b32_e32 v4, 1, v44
	v_cmp_eq_u32_e32 vcc, 0, v4
	v_mul_f64 v[4:5], v[16:17], v[16:17]
	v_fma_f64 v[12:13], s[38:39], v[4:5], v[40:41]
	v_fma_f64 v[12:13], v[4:5], v[12:13], s[40:41]
	;; [unrolled: 1-line block ×3, first 2 shown]
	v_mul_f64 v[10:11], v[16:17], -v[4:5]
	v_fma_f64 v[12:13], v[4:5], v[12:13], s[44:45]
	v_mul_f64 v[32:33], v[18:19], 0.5
	v_fmac_f64_e32 v[32:33], v[10:11], v[12:13]
	v_fma_f64 v[12:13], v[4:5], v[32:33], -v[18:19]
	v_fma_f64 v[36:37], s[22:23], v[4:5], v[38:39]
	v_fmac_f64_e32 v[12:13], s[34:35], v[10:11]
	v_fma_f64 v[36:37], v[4:5], v[36:37], s[24:25]
	v_add_f64 v[10:11], v[16:17], -v[12:13]
	v_mul_f64 v[12:13], v[4:5], 0.5
	v_fma_f64 v[36:37], v[4:5], v[36:37], s[26:27]
	v_add_f64 v[32:33], -v[12:13], 1.0
	v_fma_f64 v[36:37], v[4:5], v[36:37], s[28:29]
	v_mul_f64 v[34:35], v[4:5], v[4:5]
	v_fma_f64 v[4:5], v[4:5], v[36:37], s[30:31]
	v_add_f64 v[36:37], -v[32:33], 1.0
	v_add_f64 v[12:13], v[36:37], -v[12:13]
	v_fma_f64 v[12:13], v[16:17], -v[18:19], v[12:13]
	v_fmac_f64_e32 v[12:13], v[34:35], v[4:5]
	v_add_f64 v[4:5], v[32:33], v[12:13]
	v_cndmask_b32_e32 v4, v4, v10, vcc
	v_lshlrev_b32_e32 v10, 30, v44
	v_xor_b32_e32 v10, v10, v103
	v_cndmask_b32_e32 v5, v5, v11, vcc
	v_and_b32_e32 v10, 0x80000000, v10
	v_xor_b32_e32 v5, v5, v10
	v_cndmask_b32_e64 v4, 0, v4, s[8:9]
	v_cndmask_b32_e64 v5, v120, v5, s[8:9]
	v_mul_f64 v[12:13], v[6:7], v[42:43]
	v_mul_f64 v[4:5], v[4:5], v[4:5]
	v_cndmask_b32_e64 v2, 0, v2, s[8:9]
	v_cndmask_b32_e64 v3, v120, v3, s[8:9]
	v_add_f64 v[10:11], v[6:7], v[22:23]
	v_mul_f64 v[12:13], v[4:5], v[12:13]
	v_fma_f64 v[10:11], v[10:11], v[10:11], -v[12:13]
	v_mul_f64 v[2:3], v[2:3], v[2:3]
	v_mul_f64 v[10:11], v[4:5], v[10:11]
	v_fmac_f64_e32 v[22:23], v[6:7], v[2:3]
	v_div_scale_f64 v[2:3], s[0:1], v[22:23], v[22:23], v[10:11]
	v_rcp_f64_e32 v[12:13], v[2:3]
	v_mov_b32_e32 v50, 0xffffff80
	v_mov_b32_e32 v51, 0x260
	s_mov_b32 s11, s37
	v_fma_f64 v[16:17], -v[2:3], v[12:13], 1.0
	v_fmac_f64_e32 v[12:13], v[12:13], v[16:17]
	v_fma_f64 v[16:17], -v[2:3], v[12:13], 1.0
	v_fmac_f64_e32 v[12:13], v[12:13], v[16:17]
	v_div_scale_f64 v[16:17], vcc, v[10:11], v[22:23], v[10:11]
	v_mul_f64 v[18:19], v[16:17], v[12:13]
	v_fma_f64 v[2:3], -v[2:3], v[18:19], v[16:17]
	s_mov_b32 s2, 0x3b39803f
	s_nop 0
	v_div_fmas_f64 v[2:3], v[2:3], v[12:13], v[18:19]
	v_div_fixup_f64 v[2:3], v[2:3], v[22:23], v[10:11]
	v_div_scale_f64 v[10:11], s[0:1], v[42:43], v[42:43], v[22:23]
	v_rcp_f64_e32 v[12:13], v[10:11]
	s_mov_b32 s3, 0x3c7abc9e
	s_mov_b32 s6, s2
	v_mov_b32_e32 v52, 0x7ff00000
	v_fma_f64 v[16:17], -v[10:11], v[12:13], 1.0
	v_fmac_f64_e32 v[12:13], v[12:13], v[16:17]
	v_fma_f64 v[16:17], -v[10:11], v[12:13], 1.0
	v_fmac_f64_e32 v[12:13], v[12:13], v[16:17]
	v_div_scale_f64 v[16:17], vcc, v[22:23], v[42:43], v[22:23]
	v_mul_f64 v[18:19], v[16:17], v[12:13]
	v_fma_f64 v[10:11], -v[10:11], v[18:19], v[16:17]
	v_mov_b32_e32 v53, 0x3ff00000
	s_nop 0
	v_div_fmas_f64 v[10:11], v[10:11], v[12:13], v[18:19]
	buffer_load_dword v12, off, s[96:99], 0 offset:368 ; 4-byte Folded Reload
	buffer_load_dword v13, off, s[96:99], 0 offset:372 ; 4-byte Folded Reload
	v_div_fixup_f64 v[10:11], v[10:11], v[42:43], v[22:23]
	s_movk_i32 s52, 0x204
	s_brev_b32 s16, -2
	s_movk_i32 s37, 0x204
	v_mov_b32_e32 v126, 0x3ff00000
	s_waitcnt vmcnt(0)
	v_mul_f64 v[12:13], v[12:13], v[118:119]
	v_mul_f64 v[4:5], v[12:13], v[4:5]
	v_div_scale_f64 v[12:13], s[0:1], v[22:23], v[22:23], v[4:5]
	v_rcp_f64_e32 v[16:17], v[12:13]
	v_fma_f64 v[18:19], -v[12:13], v[16:17], 1.0
	v_fmac_f64_e32 v[16:17], v[16:17], v[18:19]
	v_fma_f64 v[18:19], -v[12:13], v[16:17], 1.0
	v_fmac_f64_e32 v[16:17], v[16:17], v[18:19]
	v_div_scale_f64 v[18:19], vcc, v[4:5], v[22:23], v[4:5]
	v_mul_f64 v[32:33], v[18:19], v[16:17]
	v_fma_f64 v[12:13], -v[12:13], v[32:33], v[18:19]
	s_nop 1
	v_div_fmas_f64 v[12:13], v[12:13], v[16:17], v[32:33]
	v_div_fixup_f64 v[4:5], v[12:13], v[22:23], v[4:5]
	v_div_scale_f64 v[12:13], s[0:1], v[22:23], v[22:23], v[24:25]
	v_rcp_f64_e32 v[16:17], v[12:13]
	v_fma_f64 v[18:19], -v[12:13], v[16:17], 1.0
	v_fmac_f64_e32 v[16:17], v[16:17], v[18:19]
	v_fma_f64 v[18:19], -v[12:13], v[16:17], 1.0
	v_fmac_f64_e32 v[16:17], v[16:17], v[18:19]
	v_div_scale_f64 v[18:19], vcc, v[24:25], v[22:23], v[24:25]
	v_mul_f64 v[32:33], v[18:19], v[16:17]
	v_fma_f64 v[12:13], -v[12:13], v[32:33], v[18:19]
	s_nop 1
	v_div_fmas_f64 v[12:13], v[12:13], v[16:17], v[32:33]
	v_div_scale_f64 v[16:17], s[0:1], v[76:77], v[76:77], v[92:93]
	v_rcp_f64_e32 v[18:19], v[16:17]
	v_div_fixup_f64 v[12:13], v[12:13], v[22:23], v[24:25]
	v_add_f64 v[12:13], -v[12:13], 1.0
	v_fma_f64 v[22:23], -v[16:17], v[18:19], 1.0
	v_fmac_f64_e32 v[18:19], v[18:19], v[22:23]
	v_fma_f64 v[22:23], -v[16:17], v[18:19], 1.0
	v_fmac_f64_e32 v[18:19], v[18:19], v[22:23]
	v_div_scale_f64 v[22:23], vcc, v[92:93], v[76:77], v[92:93]
	v_mul_f64 v[24:25], v[22:23], v[18:19]
	v_fma_f64 v[16:17], -v[16:17], v[24:25], v[22:23]
	s_nop 1
	v_div_fmas_f64 v[16:17], v[16:17], v[18:19], v[24:25]
	v_div_fixup_f64 v[16:17], v[16:17], v[76:77], v[92:93]
	v_mul_f64 v[18:19], v[16:17], v[16:17]
	v_fma_f64 v[2:3], v[2:3], v[18:19], -v[12:13]
	v_add_f64 v[12:13], v[16:17], v[16:17]
	v_fma_f64 v[2:3], -v[4:5], v[12:13], v[2:3]
	v_mul_f64 v[4:5], v[10:11], v[74:75]
	v_fma_f64 v[4:5], v[74:75], v[4:5], 1.0
	v_div_scale_f64 v[10:11], s[0:1], -v[2:3], -v[2:3], v[4:5]
	v_rcp_f64_e32 v[12:13], v[10:11]
	s_mov_b32 s0, 0
	s_brev_b32 s1, 8
	v_fma_f64 v[18:19], -v[10:11], v[12:13], 1.0
	v_fmac_f64_e32 v[12:13], v[12:13], v[18:19]
	v_fma_f64 v[18:19], -v[10:11], v[12:13], 1.0
	v_fmac_f64_e32 v[12:13], v[12:13], v[18:19]
	v_div_scale_f64 v[18:19], vcc, v[4:5], -v[2:3], v[4:5]
	v_mul_f64 v[22:23], v[18:19], v[12:13]
	v_fma_f64 v[10:11], -v[10:11], v[22:23], v[18:19]
	s_nop 1
	v_div_fmas_f64 v[10:11], v[10:11], v[12:13], v[22:23]
	v_div_fixup_f64 v[2:3], v[10:11], -v[2:3], v[4:5]
	v_cmp_gt_f64_e32 vcc, s[0:1], v[2:3]
	v_cndmask_b32_e64 v4, 0, 1, vcc
	v_lshlrev_b32_e32 v4, 8, v4
	v_ldexp_f64 v[2:3], v[2:3], v4
	v_rsq_f64_e32 v[4:5], v[2:3]
	v_readlane_b32 s0, v127, 4
	v_readlane_b32 s1, v127, 5
	v_mul_f64 v[10:11], v[2:3], v[4:5]
	v_mul_f64 v[4:5], v[4:5], 0.5
	v_fma_f64 v[12:13], -v[4:5], v[10:11], 0.5
	v_fmac_f64_e32 v[10:11], v[10:11], v[12:13]
	v_fma_f64 v[18:19], -v[10:11], v[10:11], v[2:3]
	v_fmac_f64_e32 v[4:5], v[4:5], v[12:13]
	v_fmac_f64_e32 v[10:11], v[18:19], v[4:5]
	v_fma_f64 v[12:13], -v[10:11], v[10:11], v[2:3]
	v_fmac_f64_e32 v[10:11], v[12:13], v[4:5]
	v_cndmask_b32_e32 v4, 0, v50, vcc
	v_ldexp_f64 v[4:5], v[10:11], v4
	buffer_load_dword v10, off, s[96:99], 0 offset:24 ; 4-byte Folded Reload
	buffer_load_dword v11, off, s[96:99], 0 offset:28 ; 4-byte Folded Reload
	v_cmp_class_f64_e32 vcc, v[2:3], v51
	v_cndmask_b32_e32 v3, v5, v3, vcc
	v_cndmask_b32_e32 v2, v4, v2, vcc
	v_mul_f64 v[4:5], v[16:17], v[2:3]
	s_waitcnt vmcnt(0)
	v_fma_f64 v[16:17], v[10:11], v[4:5], -v[2:3]
	v_mul_f64 v[2:3], v[78:79], v[78:79]
	v_mul_f64 v[4:5], v[2:3], 0.5
	v_fma_f64 v[22:23], s[22:23], v[2:3], v[38:39]
	v_add_f64 v[10:11], -v[4:5], 1.0
	v_fma_f64 v[22:23], v[2:3], v[22:23], s[24:25]
	v_add_f64 v[12:13], -v[10:11], 1.0
	v_fma_f64 v[22:23], v[2:3], v[22:23], s[26:27]
	v_add_f64 v[4:5], v[12:13], -v[4:5]
	v_fma_f64 v[22:23], v[2:3], v[22:23], s[28:29]
	v_mul_f64 v[12:13], v[2:3], v[2:3]
	v_fma_f64 v[22:23], v[2:3], v[22:23], s[30:31]
	v_fma_f64 v[4:5], v[78:79], -v[80:81], v[4:5]
	v_fmac_f64_e32 v[4:5], v[12:13], v[22:23]
	v_add_f64 v[4:5], v[10:11], v[4:5]
	v_fma_f64 v[10:11], s[38:39], v[2:3], v[40:41]
	v_fma_f64 v[10:11], v[2:3], v[10:11], s[40:41]
	;; [unrolled: 1-line block ×4, first 2 shown]
	v_mul_f64 v[12:13], v[78:79], -v[2:3]
	v_mul_f64 v[22:23], v[80:81], 0.5
	v_fmac_f64_e32 v[22:23], v[12:13], v[10:11]
	v_fma_f64 v[2:3], v[2:3], v[22:23], -v[80:81]
	v_fmac_f64_e32 v[2:3], s[34:35], v[12:13]
	v_and_b32_e32 v10, 1, v46
	v_add_f64 v[2:3], v[78:79], -v[2:3]
	v_cmp_eq_u32_e32 vcc, 0, v10
	v_cndmask_b32_e32 v2, v4, v2, vcc
	v_lshlrev_b32_e32 v4, 30, v46
	v_xor_b32_e32 v4, v4, v103
	v_cndmask_b32_e32 v3, v5, v3, vcc
	v_and_b32_e32 v4, 0x80000000, v4
	v_xor_b32_e32 v3, v3, v4
	v_cndmask_b32_e64 v2, 0, v2, s[8:9]
	v_cndmask_b32_e64 v3, v120, v3, s[8:9]
	v_mul_f64 v[4:5], v[8:9], -v[8:9]
	v_fmac_f64_e32 v[16:17], v[26:27], v[74:75]
	v_mul_f64 v[2:3], v[118:119], v[2:3]
	v_mul_f64 v[4:5], v[4:5], 0.5
	v_mul_f64 v[18:19], s[0:1], -v[16:17]
	v_div_scale_f64 v[8:9], s[0:1], v[2:3], v[2:3], v[4:5]
	v_rcp_f64_e32 v[10:11], v[8:9]
	v_fma_f64 v[12:13], -v[8:9], v[10:11], 1.0
	v_fmac_f64_e32 v[10:11], v[10:11], v[12:13]
	v_fma_f64 v[12:13], -v[8:9], v[10:11], 1.0
	v_fmac_f64_e32 v[10:11], v[10:11], v[12:13]
	v_div_scale_f64 v[12:13], vcc, v[4:5], v[2:3], v[4:5]
	v_mul_f64 v[22:23], v[12:13], v[10:11]
	v_fma_f64 v[8:9], -v[8:9], v[22:23], v[12:13]
	s_nop 1
	v_div_fmas_f64 v[8:9], v[8:9], v[10:11], v[22:23]
	v_div_fixup_f64 v[4:5], v[8:9], v[2:3], v[4:5]
	v_div_scale_f64 v[8:9], s[0:1], v[2:3], v[2:3], v[4:5]
	v_rcp_f64_e32 v[10:11], v[8:9]
	v_readlane_b32 s0, v127, 12
	v_readlane_b32 s1, v127, 13
	v_fma_f64 v[12:13], -v[8:9], v[10:11], 1.0
	v_fmac_f64_e32 v[10:11], v[10:11], v[12:13]
	v_fma_f64 v[12:13], -v[8:9], v[10:11], 1.0
	v_fmac_f64_e32 v[10:11], v[10:11], v[12:13]
	v_div_scale_f64 v[12:13], vcc, v[4:5], v[2:3], v[4:5]
	v_mul_f64 v[22:23], v[12:13], v[10:11]
	v_fma_f64 v[8:9], -v[8:9], v[22:23], v[12:13]
	s_nop 1
	v_div_fmas_f64 v[8:9], v[8:9], v[10:11], v[22:23]
	v_div_fixup_f64 v[2:3], v[8:9], v[2:3], v[4:5]
	v_mul_f64 v[4:5], v[2:3], s[0:1]
	s_mov_b32 s0, 0xfefa39ef
	s_mov_b32 s1, 0x3fe62e42
	;; [unrolled: 1-line block ×3, first 2 shown]
	v_readlane_b32 s0, v127, 16
	v_readlane_b32 s1, v127, 17
	s_mov_b32 s7, s1
	s_mov_b32 s0, 0xfca7ab0c
	v_rndne_f64_e32 v[4:5], v[4:5]
	s_mov_b32 s1, 0x3e928af3
	v_fma_f64 v[8:9], s[10:11], v[4:5], v[2:3]
	v_pk_mov_b32 v[10:11], s[0:1], s[0:1] op_sel:[0,1]
	s_mov_b32 s0, 0x6a5dcb37
	v_fmac_f64_e32 v[8:9], s[6:7], v[4:5]
	s_mov_b32 s1, 0x3e5ade15
	v_fma_f64 v[12:13], s[0:1], v[8:9], v[10:11]
	s_mov_b32 s0, 0x623fde64
	s_mov_b32 s1, 0x3ec71dee
	v_fma_f64 v[12:13], v[8:9], v[12:13], s[0:1]
	s_mov_b32 s0, 0x7c89e6b0
	;; [unrolled: 3-line block ×3, first 2 shown]
	v_writelane_b32 v127, s6, 16
	s_mov_b32 s1, 0x3f2a01a0
	v_writelane_b32 v127, s7, 17
	v_fma_f64 v[12:13], v[8:9], v[12:13], s[0:1]
	s_mov_b32 s0, 0x1852b7b0
	s_mov_b32 s1, 0x3f56c16c
	v_readlane_b32 s2, v127, 18
	v_fma_f64 v[12:13], v[8:9], v[12:13], s[0:1]
	v_readlane_b32 s3, v127, 19
	v_readlane_b32 s4, v127, 20
	v_fma_f64 v[12:13], v[8:9], v[12:13], s[2:3]
	v_readlane_b32 s5, v127, 21
	s_mov_b32 s0, 0x55555511
	v_fma_f64 v[12:13], v[8:9], v[12:13], s[4:5]
	s_mov_b32 s1, 0x3fc55555
	v_fma_f64 v[12:13], v[8:9], v[12:13], s[0:1]
	s_mov_b32 s0, 11
	s_mov_b32 s1, 0x3fe00000
	v_fma_f64 v[12:13], v[8:9], v[12:13], s[0:1]
	v_fma_f64 v[12:13], v[8:9], v[12:13], 1.0
	v_fma_f64 v[8:9], v[8:9], v[12:13], 1.0
	v_cvt_i32_f64_e32 v4, v[4:5]
	s_mov_b32 s0, 0
	v_ldexp_f64 v[4:5], v[8:9], v4
	s_mov_b32 s1, 0x417c9c38
	v_mul_f64 v[4:5], v[4:5], s[0:1]
	s_mov_b32 s0, 0
	s_mov_b32 s1, 0x40900000
	v_cmp_nlt_f64_e32 vcc, s[0:1], v[2:3]
	s_mov_b32 s0, 0
	s_mov_b32 s1, 0xc090cc00
	v_cndmask_b32_e32 v5, v52, v5, vcc
	v_cmp_ngt_f64_e64 s[8:9], s[0:1], v[2:3]
	s_and_b64 vcc, s[8:9], vcc
	v_cndmask_b32_e64 v9, 0, v5, s[8:9]
	v_readlane_b32 s8, v127, 38
	v_readlane_b32 s9, v127, 39
	v_mov_b32_e32 v2, 0xbff19999
	v_cndmask_b32_e64 v23, v2, v53, s[8:9]
	v_mov_b32_e32 v2, 0x9999999a
	v_cndmask_b32_e64 v22, v2, 0, s[8:9]
	v_mul_f64 v[2:3], v[22:23], v[82:83]
	v_cndmask_b32_e32 v8, 0, v4, vcc
	v_fma_f64 v[4:5], v[22:23], v[82:83], -v[2:3]
	v_fmac_f64_e32 v[4:5], v[22:23], v[90:91]
	v_add_f64 v[12:13], v[2:3], v[4:5]
	v_cmp_class_f64_e64 vcc, v[2:3], s52
	v_readlane_b32 s8, v127, 12
	v_add_f64 v[24:25], v[12:13], -v[2:3]
	v_cndmask_b32_e32 v3, v13, v3, vcc
	v_cndmask_b32_e32 v2, v12, v2, vcc
	v_readlane_b32 s9, v127, 13
	v_mul_f64 v[12:13], v[2:3], s[8:9]
	v_rndne_f64_e32 v[12:13], v[12:13]
	v_add_f64 v[4:5], v[4:5], -v[24:25]
	v_fma_f64 v[24:25], s[10:11], v[12:13], v[2:3]
	v_fmac_f64_e32 v[24:25], s[6:7], v[12:13]
	s_mov_b32 s6, 0x6a5dcb37
	s_mov_b32 s7, 0x3e5ade15
	v_fma_f64 v[32:33], s[6:7], v[24:25], v[10:11]
	s_mov_b32 s6, 0x623fde64
	s_mov_b32 s7, 0x3ec71dee
	v_fma_f64 v[32:33], v[24:25], v[32:33], s[6:7]
	;; [unrolled: 3-line block ×5, first 2 shown]
	v_fma_f64 v[32:33], v[24:25], v[32:33], s[2:3]
	s_mov_b32 s2, 0x55555511
	v_fma_f64 v[32:33], v[24:25], v[32:33], s[4:5]
	s_mov_b32 s3, 0x3fc55555
	v_fma_f64 v[32:33], v[24:25], v[32:33], s[2:3]
	s_mov_b32 s2, 11
	s_mov_b32 s3, 0x3fe00000
	v_fma_f64 v[32:33], v[24:25], v[32:33], s[2:3]
	v_fma_f64 v[32:33], v[24:25], v[32:33], 1.0
	s_mov_b32 s2, 0
	v_cmp_neq_f64_e64 vcc, |v[2:3]|, s[46:47]
	v_fma_f64 v[24:25], v[24:25], v[32:33], 1.0
	v_cvt_i32_f64_e32 v12, v[12:13]
	s_mov_b32 s3, 0x40900000
	v_cndmask_b32_e32 v5, 0, v5, vcc
	v_cndmask_b32_e32 v4, 0, v4, vcc
	v_ldexp_f64 v[12:13], v[24:25], v12
	v_cmp_lt_f64_e32 vcc, s[2:3], v[2:3]
	v_cndmask_b32_e64 v21, v12, 0, vcc
	v_cndmask_b32_e32 v24, v13, v52, vcc
	v_cmp_ngt_f64_e64 s[6:7], s[0:1], v[2:3]
	v_and_b32_e32 v13, 0x7fffffff, v13
	v_cndmask_b32_e64 v3, 0, v24, s[6:7]
	v_cndmask_b32_e64 v2, 0, v21, s[6:7]
	v_cmp_eq_f64_e64 s[8:9], s[46:47], v[12:13]
	v_pk_mov_b32 v[24:25], v[2:3], v[2:3] op_sel:[0,1]
	s_or_b64 s[0:1], vcc, s[8:9]
	v_fmac_f64_e32 v[24:25], v[24:25], v[4:5]
	s_and_b64 vcc, s[6:7], s[0:1]
	v_cndmask_b32_e32 v12, v24, v2, vcc
	v_cndmask_b32_e32 v13, v25, v3, vcc
	v_trunc_f64_e32 v[2:3], v[22:23]
	v_cmp_eq_f64_e32 vcc, v[2:3], v[22:23]
	v_mul_f64 v[2:3], v[22:23], 0.5
	v_trunc_f64_e32 v[4:5], v[2:3]
	v_cmp_neq_f64_e64 s[6:7], v[4:5], v[2:3]
	s_and_b64 s[6:7], vcc, s[6:7]
	v_cndmask_b32_e64 v2, v53, v119, s[6:7]
	v_bfi_b32 v2, s16, v13, v2
	v_readlane_b32 s0, v127, 40
	v_cndmask_b32_e32 v3, 0, v12, vcc
	v_cndmask_b32_e32 v4, v120, v2, vcc
	v_readlane_b32 s1, v127, 41
	v_cndmask_b32_e64 v4, v2, v4, s[0:1]
	v_cndmask_b32_e64 v2, v12, v3, s[0:1]
	v_readlane_b32 s0, v127, 42
	v_cmp_gt_f64_e32 vcc, 0, v[22:23]
	v_readlane_b32 s1, v127, 43
	s_xor_b64 s[0:1], s[0:1], vcc
	v_cndmask_b32_e64 v3, v52, 0, s[0:1]
	v_cndmask_b32_e64 v5, 0, v119, s[6:7]
	v_readlane_b32 s0, v127, 44
	v_bfi_b32 v3, s16, v3, v5
	v_readlane_b32 s1, v127, 45
	v_cndmask_b32_e64 v2, v2, 0, s[0:1]
	v_cndmask_b32_e64 v3, v4, v3, s[0:1]
	s_mov_b32 s0, 0x763a43f4
	v_mul_f64 v[8:9], v[2:3], v[8:9]
	s_mov_b32 s1, 0x40041b2f
	v_mul_f64 v[2:3], v[8:9], s[0:1]
	s_mov_b32 s0, 0xd69d246c
	s_mov_b32 s1, 0x3b002d36
	v_mul_f64 v[2:3], v[2:3], s[0:1]
	s_mov_b32 s0, 0xf3a00000
	s_mov_b32 s1, 0x421beb9b
	v_mul_f64 v[2:3], v[2:3], s[0:1]
	s_mov_b32 s2, 0
	v_mul_f64 v[2:3], v[2:3], s[0:1]
	s_mov_b32 s3, 0x40180000
	v_div_scale_f64 v[4:5], s[0:1], s[2:3], s[2:3], v[2:3]
	v_rcp_f64_e32 v[12:13], v[4:5]
	s_mov_b32 s4, 0x48a2940
	s_mov_b32 s5, 0x3e0080f2
	;; [unrolled: 1-line block ×3, first 2 shown]
	v_fma_f64 v[22:23], -v[4:5], v[12:13], 1.0
	v_fmac_f64_e32 v[12:13], v[12:13], v[22:23]
	v_fma_f64 v[22:23], -v[4:5], v[12:13], 1.0
	v_fmac_f64_e32 v[12:13], v[12:13], v[22:23]
	v_div_scale_f64 v[22:23], vcc, v[2:3], s[2:3], v[2:3]
	v_mul_f64 v[24:25], v[22:23], v[12:13]
	v_fma_f64 v[4:5], -v[4:5], v[24:25], v[22:23]
	s_mov_b32 s7, 0x400921fb
	s_nop 0
	v_div_fmas_f64 v[4:5], v[4:5], v[12:13], v[24:25]
	v_div_fixup_f64 v[2:3], v[4:5], s[2:3], v[2:3]
	v_div_scale_f64 v[4:5], s[0:1], v[118:119], v[118:119], v[2:3]
	v_rcp_f64_e32 v[12:13], v[4:5]
	s_mov_b32 s0, 0
	s_brev_b32 s1, 8
	s_mov_b32 s2, 0x635807cb
	v_fma_f64 v[22:23], -v[4:5], v[12:13], 1.0
	v_fmac_f64_e32 v[12:13], v[12:13], v[22:23]
	v_fma_f64 v[22:23], -v[4:5], v[12:13], 1.0
	v_fmac_f64_e32 v[12:13], v[12:13], v[22:23]
	v_div_scale_f64 v[22:23], vcc, v[2:3], v[118:119], v[2:3]
	v_mul_f64 v[24:25], v[22:23], v[12:13]
	v_fma_f64 v[4:5], -v[4:5], v[24:25], v[22:23]
	s_mov_b32 s3, 0x3a520b02
	s_nop 0
	v_div_fmas_f64 v[4:5], v[4:5], v[12:13], v[24:25]
	v_div_fixup_f64 v[2:3], v[4:5], v[118:119], v[2:3]
	v_cmp_gt_f64_e32 vcc, s[0:1], v[2:3]
	v_cndmask_b32_e64 v4, 0, 1, vcc
	v_lshlrev_b32_e32 v4, 8, v4
	v_ldexp_f64 v[2:3], v[2:3], v4
	v_rsq_f64_e32 v[4:5], v[2:3]
	s_mov_b32 s8, 0xf3a00000
	s_mov_b32 s9, 0x421beb9b
	v_mul_f64 v[12:13], v[2:3], v[4:5]
	v_mul_f64 v[4:5], v[4:5], 0.5
	v_fma_f64 v[22:23], -v[4:5], v[12:13], 0.5
	v_fmac_f64_e32 v[12:13], v[12:13], v[22:23]
	v_fma_f64 v[24:25], -v[12:13], v[12:13], v[2:3]
	v_fmac_f64_e32 v[4:5], v[4:5], v[22:23]
	v_fmac_f64_e32 v[12:13], v[24:25], v[4:5]
	v_fma_f64 v[22:23], -v[12:13], v[12:13], v[2:3]
	v_fmac_f64_e32 v[12:13], v[22:23], v[4:5]
	v_cndmask_b32_e32 v4, 0, v50, vcc
	v_ldexp_f64 v[4:5], v[12:13], v4
	v_cmp_class_f64_e32 vcc, v[2:3], v51
	v_cndmask_b32_e32 v3, v5, v3, vcc
	v_cndmask_b32_e32 v2, v4, v2, vcc
	v_mul_f64 v[2:3], v[2:3], s[4:5]
	v_mul_f64 v[2:3], v[2:3], 0.5
	v_div_scale_f64 v[4:5], s[0:1], s[6:7], s[6:7], v[2:3]
	v_rcp_f64_e32 v[12:13], v[4:5]
	v_fma_f64 v[22:23], -v[4:5], v[12:13], 1.0
	v_fmac_f64_e32 v[12:13], v[12:13], v[22:23]
	v_fma_f64 v[22:23], -v[4:5], v[12:13], 1.0
	v_fmac_f64_e32 v[12:13], v[12:13], v[22:23]
	v_div_scale_f64 v[22:23], vcc, v[2:3], s[6:7], v[2:3]
	v_mul_f64 v[24:25], v[22:23], v[12:13]
	v_fma_f64 v[4:5], -v[4:5], v[24:25], v[22:23]
	s_nop 1
	v_div_fmas_f64 v[4:5], v[4:5], v[12:13], v[24:25]
	v_div_fixup_f64 v[2:3], v[4:5], s[6:7], v[2:3]
	v_div_scale_f64 v[4:5], s[0:1], s[2:3], s[2:3], v[2:3]
	v_rcp_f64_e32 v[12:13], v[4:5]
	v_fma_f64 v[22:23], -v[4:5], v[12:13], 1.0
	v_fmac_f64_e32 v[12:13], v[12:13], v[22:23]
	v_fma_f64 v[22:23], -v[4:5], v[12:13], 1.0
	v_fmac_f64_e32 v[12:13], v[12:13], v[22:23]
	v_div_scale_f64 v[22:23], vcc, v[2:3], s[2:3], v[2:3]
	v_mul_f64 v[24:25], v[22:23], v[12:13]
	v_fma_f64 v[4:5], -v[4:5], v[24:25], v[22:23]
	s_nop 1
	v_div_fmas_f64 v[4:5], v[4:5], v[12:13], v[24:25]
	v_div_fixup_f64 v[2:3], v[4:5], s[2:3], v[2:3]
	v_div_scale_f64 v[4:5], s[0:1], s[8:9], s[8:9], v[2:3]
	v_rcp_f64_e32 v[12:13], v[4:5]
	s_mov_b32 s2, 0
	s_mov_b32 s3, 0x40080000
	v_fma_f64 v[22:23], -v[4:5], v[12:13], 1.0
	v_fmac_f64_e32 v[12:13], v[12:13], v[22:23]
	v_fma_f64 v[22:23], -v[4:5], v[12:13], 1.0
	v_fmac_f64_e32 v[12:13], v[12:13], v[22:23]
	v_div_scale_f64 v[22:23], vcc, v[2:3], s[8:9], v[2:3]
	v_mul_f64 v[24:25], v[22:23], v[12:13]
	v_fma_f64 v[4:5], -v[4:5], v[24:25], v[22:23]
	v_add_f64 v[22:23], v[18:19], v[18:19]
	s_nop 0
	v_div_fmas_f64 v[4:5], v[4:5], v[12:13], v[24:25]
	v_div_fixup_f64 v[2:3], v[4:5], s[8:9], v[2:3]
	v_div_scale_f64 v[4:5], s[0:1], s[2:3], s[2:3], v[22:23]
	v_rcp_f64_e32 v[12:13], v[4:5]
	v_fma_f64 v[24:25], -v[4:5], v[12:13], 1.0
	v_fmac_f64_e32 v[12:13], v[12:13], v[24:25]
	v_fma_f64 v[24:25], -v[4:5], v[12:13], 1.0
	v_fmac_f64_e32 v[12:13], v[12:13], v[24:25]
	v_div_scale_f64 v[24:25], vcc, v[22:23], s[2:3], v[22:23]
	v_mul_f64 v[32:33], v[24:25], v[12:13]
	v_fma_f64 v[4:5], -v[4:5], v[32:33], v[24:25]
	s_nop 1
	v_div_fmas_f64 v[4:5], v[4:5], v[12:13], v[32:33]
	v_div_fixup_f64 v[4:5], v[4:5], s[2:3], v[22:23]
	v_div_scale_f64 v[12:13], s[0:1], v[2:3], v[2:3], v[4:5]
	v_rcp_f64_e32 v[24:25], v[12:13]
	s_mov_b32 s2, 0xe8584caa
	s_mov_b32 s3, 0x3ffbb67a
	v_fma_f64 v[32:33], -v[12:13], v[24:25], 1.0
	v_fmac_f64_e32 v[24:25], v[24:25], v[32:33]
	v_fma_f64 v[32:33], -v[12:13], v[24:25], 1.0
	v_fmac_f64_e32 v[24:25], v[24:25], v[32:33]
	v_div_scale_f64 v[32:33], vcc, v[4:5], v[2:3], v[4:5]
	v_mul_f64 v[34:35], v[32:33], v[24:25]
	v_fma_f64 v[12:13], -v[12:13], v[34:35], v[32:33]
	s_nop 1
	v_div_fmas_f64 v[12:13], v[12:13], v[24:25], v[34:35]
	v_div_fixup_f64 v[2:3], v[12:13], v[2:3], v[4:5]
	v_div_scale_f64 v[4:5], s[0:1], v[94:95], v[94:95], v[2:3]
	v_rcp_f64_e32 v[12:13], v[4:5]
	v_fma_f64 v[24:25], -v[4:5], v[12:13], 1.0
	v_fmac_f64_e32 v[12:13], v[12:13], v[24:25]
	v_fma_f64 v[24:25], -v[4:5], v[12:13], 1.0
	v_fmac_f64_e32 v[12:13], v[12:13], v[24:25]
	v_div_scale_f64 v[24:25], vcc, v[2:3], v[94:95], v[2:3]
	v_mul_f64 v[32:33], v[24:25], v[12:13]
	v_fma_f64 v[4:5], -v[4:5], v[32:33], v[24:25]
	s_nop 1
	v_div_fmas_f64 v[4:5], v[4:5], v[12:13], v[32:33]
	v_div_fixup_f64 v[2:3], v[4:5], v[94:95], v[2:3]
	v_div_scale_f64 v[4:5], s[0:1], v[94:95], v[94:95], v[2:3]
	v_rcp_f64_e32 v[12:13], v[4:5]
	v_readlane_b32 s0, v127, 30
	v_readlane_b32 s1, v127, 31
	s_mov_b32 s7, s1
	v_fma_f64 v[24:25], -v[4:5], v[12:13], 1.0
	v_fmac_f64_e32 v[12:13], v[12:13], v[24:25]
	v_fma_f64 v[24:25], -v[4:5], v[12:13], 1.0
	v_fmac_f64_e32 v[12:13], v[12:13], v[24:25]
	v_div_scale_f64 v[24:25], vcc, v[2:3], v[94:95], v[2:3]
	v_mul_f64 v[32:33], v[24:25], v[12:13]
	v_fma_f64 v[4:5], -v[4:5], v[32:33], v[24:25]
	v_writelane_b32 v127, s0, 30
	s_nop 0
	v_div_fmas_f64 v[4:5], v[4:5], v[12:13], v[32:33]
	v_div_fixup_f64 v[34:35], v[4:5], v[94:95], v[2:3]
	v_mul_f64 v[2:3], v[8:9], s[6:7]
	v_mul_f64 v[2:3], v[2:3], s[4:5]
	;; [unrolled: 1-line block ×4, first 2 shown]
	v_writelane_b32 v127, s1, 31
	v_div_scale_f64 v[4:5], s[0:1], s[2:3], s[2:3], v[2:3]
	v_rcp_f64_e32 v[8:9], v[4:5]
	s_mov_b32 s4, 0x4222de17
	s_mov_b32 s5, 0x3fbdee67
	v_fma_f64 v[12:13], -v[4:5], v[8:9], 1.0
	v_fmac_f64_e32 v[8:9], v[8:9], v[12:13]
	v_fma_f64 v[12:13], -v[4:5], v[8:9], 1.0
	v_fmac_f64_e32 v[8:9], v[8:9], v[12:13]
	v_div_scale_f64 v[12:13], vcc, v[2:3], s[2:3], v[2:3]
	v_mul_f64 v[24:25], v[12:13], v[8:9]
	v_fma_f64 v[4:5], -v[4:5], v[24:25], v[12:13]
	s_nop 1
	v_div_fmas_f64 v[4:5], v[4:5], v[8:9], v[24:25]
	v_div_fixup_f64 v[2:3], v[4:5], s[2:3], v[2:3]
	v_div_scale_f64 v[4:5], s[0:1], v[58:59], v[58:59], v[2:3]
	v_rcp_f64_e32 v[8:9], v[4:5]
	s_mov_b32 s2, 0xf3a00000
	s_mov_b32 s3, 0x421beb9b
	v_fma_f64 v[12:13], -v[4:5], v[8:9], 1.0
	v_fmac_f64_e32 v[8:9], v[8:9], v[12:13]
	v_fma_f64 v[12:13], -v[4:5], v[8:9], 1.0
	v_fmac_f64_e32 v[8:9], v[8:9], v[12:13]
	v_div_scale_f64 v[12:13], vcc, v[2:3], v[58:59], v[2:3]
	v_mul_f64 v[24:25], v[12:13], v[8:9]
	v_fma_f64 v[4:5], -v[4:5], v[24:25], v[12:13]
	s_nop 1
	v_div_fmas_f64 v[4:5], v[4:5], v[8:9], v[24:25]
	v_div_fixup_f64 v[2:3], v[4:5], v[58:59], v[2:3]
	v_div_scale_f64 v[4:5], s[0:1], s[2:3], s[2:3], v[2:3]
	v_rcp_f64_e32 v[8:9], v[4:5]
	v_cmp_eq_f64_e64 s[0:1], 1.0, v[34:35]
	v_writelane_b32 v127, s0, 46
	v_writelane_b32 v127, s1, 47
	v_fma_f64 v[12:13], -v[4:5], v[8:9], 1.0
	v_fmac_f64_e32 v[8:9], v[8:9], v[12:13]
	v_fma_f64 v[12:13], -v[4:5], v[8:9], 1.0
	v_fmac_f64_e32 v[8:9], v[8:9], v[12:13]
	v_div_scale_f64 v[12:13], vcc, v[2:3], s[2:3], v[2:3]
	v_mul_f64 v[24:25], v[12:13], v[8:9]
	v_fma_f64 v[4:5], -v[4:5], v[24:25], v[12:13]
	s_nop 1
	v_div_fmas_f64 v[4:5], v[4:5], v[8:9], v[24:25]
	v_div_fixup_f64 v[24:25], v[4:5], s[2:3], v[2:3]
	buffer_load_dword v2, off, s[96:99], 0 offset:248 ; 4-byte Folded Reload
	buffer_load_dword v3, off, s[96:99], 0 offset:252 ; 4-byte Folded Reload
	s_mov_b32 s3, s79
	s_mov_b32 s2, s34
	v_frexp_exp_i32_f64_e32 v4, v[34:35]
	s_waitcnt vmcnt(0)
	v_cndmask_b32_e64 v45, v3, v53, s[0:1]
	buffer_load_dword v2, off, s[96:99], 0 offset:112 ; 4-byte Folded Reload
	buffer_load_dword v3, off, s[96:99], 0 offset:116 ; 4-byte Folded Reload
	s_waitcnt vmcnt(1)
	v_cndmask_b32_e64 v44, v2, 0, s[0:1]
	s_waitcnt vmcnt(0)
	v_frexp_mant_f64_e64 v[2:3], |v[34:35]|
	v_cmp_gt_f64_e32 vcc, s[2:3], v[2:3]
	v_cndmask_b32_e64 v21, v53, 2.0, vcc
	v_mul_f64 v[2:3], v[2:3], v[20:21]
	v_add_f64 v[8:9], v[2:3], 1.0
	v_add_f64 v[12:13], v[8:9], -1.0
	v_subbrev_co_u32_e32 v21, vcc, 0, v4, vcc
	v_add_f64 v[4:5], v[2:3], -1.0
	v_add_f64 v[2:3], v[2:3], -v[12:13]
	v_rcp_f64_e32 v[12:13], v[8:9]
	s_mov_b32 s0, 0xfefa39ef
	s_mov_b32 s1, 0x3fe62e42
	v_fma_f64 v[32:33], -v[8:9], v[12:13], 1.0
	v_fmac_f64_e32 v[12:13], v[32:33], v[12:13]
	v_fma_f64 v[32:33], -v[8:9], v[12:13], 1.0
	v_fmac_f64_e32 v[12:13], v[32:33], v[12:13]
	v_mul_f64 v[32:33], v[4:5], v[12:13]
	v_mul_f64 v[36:37], v[8:9], v[32:33]
	v_fma_f64 v[8:9], v[32:33], v[8:9], -v[36:37]
	v_fmac_f64_e32 v[8:9], v[32:33], v[2:3]
	v_add_f64 v[2:3], v[36:37], v[8:9]
	v_add_f64 v[38:39], v[4:5], -v[2:3]
	v_add_f64 v[36:37], v[2:3], -v[36:37]
	;; [unrolled: 1-line block ×5, first 2 shown]
	v_add_f64 v[2:3], v[4:5], v[2:3]
	v_add_f64 v[2:3], v[38:39], v[2:3]
	v_mul_f64 v[2:3], v[12:13], v[2:3]
	v_add_f64 v[4:5], v[32:33], v[2:3]
	v_add_f64 v[8:9], v[4:5], -v[32:33]
	v_add_f64 v[2:3], v[2:3], -v[8:9]
	v_mul_f64 v[8:9], v[4:5], v[4:5]
	v_fma_f64 v[12:13], v[4:5], v[4:5], -v[8:9]
	v_add_f64 v[32:33], v[2:3], v[2:3]
	v_fmac_f64_e32 v[12:13], v[4:5], v[32:33]
	v_add_f64 v[32:33], v[8:9], v[12:13]
	v_add_f64 v[8:9], v[32:33], -v[8:9]
	v_add_f64 v[8:9], v[12:13], -v[8:9]
	buffer_load_dword v12, off, s[96:99], 0 offset:256 ; 4-byte Folded Reload
	buffer_load_dword v13, off, s[96:99], 0 offset:260 ; 4-byte Folded Reload
	;; [unrolled: 1-line block ×4, first 2 shown]
	v_mul_f64 v[46:47], v[4:5], v[32:33]
	v_fma_f64 v[48:49], v[32:33], v[4:5], -v[46:47]
	v_fmac_f64_e32 v[48:49], v[32:33], v[2:3]
	v_fmac_f64_e32 v[48:49], v[8:9], v[4:5]
	v_ldexp_f64 v[42:43], v[2:3], 1
	v_add_f64 v[2:3], v[46:47], v[48:49]
	s_waitcnt vmcnt(2)
	v_fmac_f64_e32 v[12:13], s[4:5], v[32:33]
	s_waitcnt vmcnt(0)
	v_fmac_f64_e32 v[36:37], v[32:33], v[12:13]
	buffer_load_dword v12, off, s[96:99], 0 offset:272 ; 4-byte Folded Reload
	buffer_load_dword v13, off, s[96:99], 0 offset:276 ; 4-byte Folded Reload
	s_mov_b32 s5, s79
	v_writelane_b32 v127, s4, 22
	v_writelane_b32 v127, s5, 23
	s_waitcnt vmcnt(0)
	v_fmac_f64_e32 v[12:13], v[32:33], v[36:37]
	buffer_load_dword v36, off, s[96:99], 0 offset:280 ; 4-byte Folded Reload
	buffer_load_dword v37, off, s[96:99], 0 offset:284 ; 4-byte Folded Reload
	s_waitcnt vmcnt(0)
	v_fmac_f64_e32 v[36:37], v[32:33], v[12:13]
	buffer_load_dword v12, off, s[96:99], 0 offset:288 ; 4-byte Folded Reload
	buffer_load_dword v13, off, s[96:99], 0 offset:292 ; 4-byte Folded Reload
	;; [unrolled: 4-line block ×5, first 2 shown]
	s_waitcnt vmcnt(0)
	v_fmac_f64_e32 v[36:37], v[32:33], v[12:13]
	v_cvt_f64_i32_e32 v[12:13], v21
	v_mul_f64 v[38:39], v[12:13], s[0:1]
	v_fma_f64 v[40:41], v[12:13], s[0:1], -v[38:39]
	s_mov_b32 s0, 0x3b39803f
	s_mov_b32 s1, 0x3c7abc9e
	v_fmac_f64_e32 v[40:41], s[0:1], v[12:13]
	v_add_f64 v[12:13], v[38:39], v[40:41]
	v_add_f64 v[38:39], v[12:13], -v[38:39]
	v_add_f64 v[38:39], v[40:41], -v[38:39]
	v_ldexp_f64 v[40:41], v[4:5], 1
	v_add_f64 v[4:5], v[2:3], -v[46:47]
	v_mul_f64 v[46:47], v[32:33], v[36:37]
	v_fma_f64 v[32:33], v[32:33], v[36:37], -v[46:47]
	v_fmac_f64_e32 v[32:33], v[8:9], v[36:37]
	v_add_f64 v[8:9], v[46:47], v[32:33]
	v_add_f64 v[36:37], v[8:9], -v[46:47]
	v_add_f64 v[32:33], v[32:33], -v[36:37]
	v_add_f64 v[36:37], v[8:9], s[2:3]
	v_readlane_b32 s2, v127, 10
	v_readlane_b32 s3, v127, 11
	s_mov_b32 s2, s34
	s_mov_b32 s5, s3
	v_add_f64 v[46:47], v[36:37], s[2:3]
	s_mov_b32 s2, 0xd5df274d
	s_mov_b32 s3, 0x3c8543b0
	v_add_f64 v[8:9], v[8:9], -v[46:47]
	v_add_f64 v[32:33], v[32:33], s[2:3]
	v_add_f64 v[8:9], v[32:33], v[8:9]
	;; [unrolled: 1-line block ×3, first 2 shown]
	v_add_f64 v[36:37], v[36:37], -v[32:33]
	v_add_f64 v[8:9], v[8:9], v[36:37]
	v_mul_f64 v[36:37], v[2:3], v[32:33]
	v_fma_f64 v[46:47], v[2:3], v[32:33], -v[36:37]
	v_add_f64 v[4:5], v[48:49], -v[4:5]
	v_fmac_f64_e32 v[46:47], v[2:3], v[8:9]
	v_fmac_f64_e32 v[46:47], v[4:5], v[32:33]
	v_add_f64 v[2:3], v[36:37], v[46:47]
	v_add_f64 v[4:5], v[2:3], -v[36:37]
	v_add_f64 v[8:9], v[40:41], v[2:3]
	v_add_f64 v[4:5], v[46:47], -v[4:5]
	v_add_f64 v[32:33], v[8:9], -v[40:41]
	;; [unrolled: 1-line block ×3, first 2 shown]
	v_add_f64 v[4:5], v[42:43], v[4:5]
	v_add_f64 v[2:3], v[4:5], v[2:3]
	;; [unrolled: 1-line block ×3, first 2 shown]
	v_add_f64 v[8:9], v[4:5], -v[8:9]
	v_add_f64 v[2:3], v[2:3], -v[8:9]
	v_add_f64 v[8:9], v[12:13], v[4:5]
	v_add_f64 v[32:33], v[8:9], -v[12:13]
	v_add_f64 v[36:37], v[8:9], -v[32:33]
	;; [unrolled: 1-line block ×4, first 2 shown]
	v_add_f64 v[4:5], v[4:5], v[12:13]
	v_add_f64 v[12:13], v[38:39], v[2:3]
	v_add_f64 v[32:33], v[12:13], -v[38:39]
	v_add_f64 v[4:5], v[12:13], v[4:5]
	v_add_f64 v[36:37], v[12:13], -v[32:33]
	;; [unrolled: 2-line block ×3, first 2 shown]
	v_add_f64 v[2:3], v[2:3], -v[32:33]
	v_add_f64 v[8:9], v[12:13], -v[8:9]
	v_add_f64 v[2:3], v[2:3], v[36:37]
	v_add_f64 v[4:5], v[4:5], -v[8:9]
	v_add_f64 v[2:3], v[2:3], v[4:5]
	v_add_f64 v[8:9], v[12:13], v[2:3]
	v_add_f64 v[4:5], v[8:9], -v[12:13]
	v_add_f64 v[38:39], v[2:3], -v[4:5]
	v_mul_f64 v[2:3], v[44:45], v[8:9]
	v_writelane_b32 v127, s4, 10
	v_fma_f64 v[4:5], v[44:45], v[8:9], -v[2:3]
	v_writelane_b32 v127, s5, 11
	v_fmac_f64_e32 v[4:5], v[44:45], v[38:39]
	v_add_f64 v[12:13], v[2:3], v[4:5]
	v_cmp_class_f64_e64 vcc, v[2:3], s52
	v_readlane_b32 s0, v127, 12
	v_add_f64 v[32:33], v[12:13], -v[2:3]
	v_cndmask_b32_e32 v3, v13, v3, vcc
	v_cndmask_b32_e32 v2, v12, v2, vcc
	v_readlane_b32 s1, v127, 13
	v_writelane_b32 v127, s10, 14
	v_mul_f64 v[12:13], v[2:3], s[0:1]
	v_writelane_b32 v127, s11, 15
	v_rndne_f64_e32 v[12:13], v[12:13]
	v_readlane_b32 s0, v127, 16
	v_add_f64 v[4:5], v[4:5], -v[32:33]
	v_fma_f64 v[32:33], s[10:11], v[12:13], v[2:3]
	v_readlane_b32 s1, v127, 17
	v_fmac_f64_e32 v[32:33], s[0:1], v[12:13]
	s_mov_b32 s0, 0x6a5dcb37
	s_mov_b32 s1, 0x3e5ade15
	v_fma_f64 v[36:37], s[0:1], v[32:33], v[10:11]
	s_mov_b32 s0, 0x623fde64
	s_mov_b32 s1, 0x3ec71dee
	v_fma_f64 v[36:37], v[32:33], v[36:37], s[0:1]
	;; [unrolled: 3-line block ×5, first 2 shown]
	v_readlane_b32 s0, v127, 18
	v_readlane_b32 s1, v127, 19
	v_fma_f64 v[36:37], v[32:33], v[36:37], s[0:1]
	v_readlane_b32 s0, v127, 20
	v_readlane_b32 s1, v127, 21
	s_mov_b32 s2, 0x55555511
	v_fma_f64 v[36:37], v[32:33], v[36:37], s[0:1]
	s_mov_b32 s3, 0x3fc55555
	v_fma_f64 v[36:37], v[32:33], v[36:37], s[2:3]
	s_mov_b32 s2, 11
	s_mov_b32 s3, 0x3fe00000
	v_fma_f64 v[36:37], v[32:33], v[36:37], s[2:3]
	s_mov_b32 s2, 0
	v_cmp_neq_f64_e64 vcc, |v[2:3]|, s[46:47]
	v_fma_f64 v[36:37], v[32:33], v[36:37], 1.0
	s_mov_b32 s3, 0x40900000
	v_cndmask_b32_e32 v5, 0, v5, vcc
	v_cndmask_b32_e32 v4, 0, v4, vcc
	v_fma_f64 v[32:33], v[32:33], v[36:37], 1.0
	v_cvt_i32_f64_e32 v12, v[12:13]
	v_cmp_lt_f64_e32 vcc, s[2:3], v[2:3]
	s_mov_b32 s2, 0
	v_ldexp_f64 v[12:13], v[32:33], v12
	s_mov_b32 s3, 0xc090cc00
	v_cndmask_b32_e64 v21, v12, 0, vcc
	v_cndmask_b32_e32 v31, v13, v52, vcc
	v_cmp_ngt_f64_e64 s[2:3], s[2:3], v[2:3]
	v_and_b32_e32 v13, 0x7fffffff, v13
	v_cndmask_b32_e64 v3, 0, v31, s[2:3]
	v_cndmask_b32_e64 v2, 0, v21, s[2:3]
	v_cmp_eq_f64_e64 s[4:5], s[46:47], v[12:13]
	v_pk_mov_b32 v[32:33], v[2:3], v[2:3] op_sel:[0,1]
	s_or_b64 s[4:5], vcc, s[4:5]
	v_fmac_f64_e32 v[32:33], v[32:33], v[4:5]
	s_and_b64 vcc, s[2:3], s[4:5]
	v_cndmask_b32_e32 v12, v32, v2, vcc
	v_cndmask_b32_e32 v13, v33, v3, vcc
	v_trunc_f64_e32 v[2:3], v[44:45]
	v_cmp_eq_f64_e32 vcc, v[2:3], v[44:45]
	v_mul_f64 v[2:3], v[44:45], 0.5
	v_trunc_f64_e32 v[4:5], v[2:3]
	v_cmp_neq_f64_e64 s[2:3], v[4:5], v[2:3]
	s_and_b64 s[6:7], vcc, s[2:3]
	v_cndmask_b32_e64 v2, v53, v35, s[6:7]
	v_bfi_b32 v2, s16, v13, v2
	v_cmp_gt_f64_e64 s[2:3], 0, v[34:35]
	v_cndmask_b32_e32 v3, 0, v12, vcc
	v_cndmask_b32_e32 v4, v120, v2, vcc
	v_cmp_eq_f64_e32 vcc, 0, v[34:35]
	v_writelane_b32 v127, s2, 48
	v_cndmask_b32_e64 v4, v2, v4, s[2:3]
	v_cndmask_b32_e64 v2, v12, v3, s[2:3]
	v_cmp_class_f64_e64 s[4:5], v[34:35], s52
	v_cndmask_b32_e64 v31, v52, 0, vcc
	v_cndmask_b32_e64 v3, 0, v35, s[6:7]
	s_or_b64 s[4:5], vcc, s[4:5]
	v_bfi_b32 v3, s16, v31, v3
	s_mov_b32 s6, 0x45a1cac1
	v_cndmask_b32_e64 v2, v2, 0, s[4:5]
	v_cndmask_b32_e64 v3, v4, v3, s[4:5]
	s_mov_b32 s7, 0x401033b6
	v_div_scale_f64 v[4:5], s[8:9], v[2:3], v[2:3], s[6:7]
	v_rcp_f64_e32 v[12:13], v[4:5]
	v_writelane_b32 v127, s3, 49
	v_cmp_u_f64_e64 s[2:3], v[34:35], v[34:35]
	v_writelane_b32 v127, s2, 50
	v_fma_f64 v[32:33], -v[4:5], v[12:13], 1.0
	v_fmac_f64_e32 v[12:13], v[12:13], v[32:33]
	v_fma_f64 v[32:33], -v[4:5], v[12:13], 1.0
	v_fmac_f64_e32 v[12:13], v[12:13], v[32:33]
	v_div_scale_f64 v[32:33], vcc, s[6:7], v[2:3], s[6:7]
	v_mul_f64 v[36:37], v[32:33], v[12:13]
	v_fma_f64 v[4:5], -v[4:5], v[36:37], v[32:33]
	v_writelane_b32 v127, s3, 51
	s_nop 0
	v_div_fmas_f64 v[4:5], v[4:5], v[12:13], v[36:37]
	v_div_fixup_f64 v[2:3], v[4:5], v[2:3], s[6:7]
	v_cndmask_b32_e64 v41, v3, v120, s[2:3]
	v_cndmask_b32_e64 v40, v2, 0, s[2:3]
	v_readlane_b32 s2, v127, 46
	v_readlane_b32 s3, v127, 47
	v_mov_b32_e32 v2, 0x3fd00000
	v_cndmask_b32_e64 v21, v2, v53, s[2:3]
	v_mul_f64 v[2:3], v[20:21], v[8:9]
	v_fma_f64 v[4:5], v[20:21], v[8:9], -v[2:3]
	v_fmac_f64_e32 v[4:5], v[20:21], v[38:39]
	v_add_f64 v[12:13], v[2:3], v[4:5]
	v_cmp_class_f64_e64 vcc, v[2:3], s52
	v_readlane_b32 s2, v127, 12
	v_add_f64 v[32:33], v[12:13], -v[2:3]
	v_cndmask_b32_e32 v3, v13, v3, vcc
	v_cndmask_b32_e32 v2, v12, v2, vcc
	v_readlane_b32 s3, v127, 13
	v_mul_f64 v[12:13], v[2:3], s[2:3]
	v_rndne_f64_e32 v[12:13], v[12:13]
	v_readlane_b32 s2, v127, 16
	v_add_f64 v[4:5], v[4:5], -v[32:33]
	v_fma_f64 v[32:33], s[10:11], v[12:13], v[2:3]
	v_readlane_b32 s3, v127, 17
	s_mov_b32 s6, 0x6a5dcb37
	v_fmac_f64_e32 v[32:33], s[2:3], v[12:13]
	s_mov_b32 s7, 0x3e5ade15
	v_fma_f64 v[36:37], s[6:7], v[32:33], v[10:11]
	s_mov_b32 s6, 0x623fde64
	s_mov_b32 s7, 0x3ec71dee
	v_fma_f64 v[36:37], v[32:33], v[36:37], s[6:7]
	s_mov_b32 s6, 0x7c89e6b0
	;; [unrolled: 3-line block ×4, first 2 shown]
	s_mov_b32 s7, 0x3f56c16c
	v_fma_f64 v[36:37], v[32:33], v[36:37], s[6:7]
	v_readlane_b32 s6, v127, 18
	v_readlane_b32 s7, v127, 19
	v_fma_f64 v[36:37], v[32:33], v[36:37], s[6:7]
	v_fma_f64 v[36:37], v[32:33], v[36:37], s[0:1]
	s_mov_b32 s0, 0x55555511
	s_mov_b32 s1, 0x3fc55555
	v_fma_f64 v[36:37], v[32:33], v[36:37], s[0:1]
	s_mov_b32 s0, 11
	s_mov_b32 s1, 0x3fe00000
	v_fma_f64 v[36:37], v[32:33], v[36:37], s[0:1]
	s_mov_b32 s0, 0
	v_cmp_neq_f64_e64 vcc, |v[2:3]|, s[46:47]
	v_fma_f64 v[36:37], v[32:33], v[36:37], 1.0
	s_mov_b32 s1, 0x40900000
	v_cndmask_b32_e32 v5, 0, v5, vcc
	v_cndmask_b32_e32 v4, 0, v4, vcc
	v_fma_f64 v[32:33], v[32:33], v[36:37], 1.0
	v_cvt_i32_f64_e32 v12, v[12:13]
	v_cmp_lt_f64_e32 vcc, s[0:1], v[2:3]
	s_mov_b32 s0, 0
	v_ldexp_f64 v[12:13], v[32:33], v12
	s_mov_b32 s1, 0xc090cc00
	v_cndmask_b32_e64 v32, v12, 0, vcc
	v_cndmask_b32_e32 v33, v13, v52, vcc
	v_cmp_ngt_f64_e64 s[8:9], s[0:1], v[2:3]
	v_and_b32_e32 v13, 0x7fffffff, v13
	v_cndmask_b32_e64 v3, 0, v33, s[8:9]
	v_cndmask_b32_e64 v2, 0, v32, s[8:9]
	v_cmp_eq_f64_e64 s[10:11], s[46:47], v[12:13]
	v_pk_mov_b32 v[32:33], v[2:3], v[2:3] op_sel:[0,1]
	s_or_b64 s[10:11], vcc, s[10:11]
	v_fmac_f64_e32 v[32:33], v[32:33], v[4:5]
	s_and_b64 vcc, s[8:9], s[10:11]
	v_cndmask_b32_e32 v12, v32, v2, vcc
	v_cndmask_b32_e32 v13, v33, v3, vcc
	v_trunc_f64_e32 v[2:3], v[20:21]
	v_cmp_eq_f64_e32 vcc, v[2:3], v[20:21]
	v_mul_f64 v[2:3], v[20:21], 0.5
	v_trunc_f64_e32 v[4:5], v[2:3]
	v_cmp_neq_f64_e64 s[8:9], v[4:5], v[2:3]
	s_and_b64 s[8:9], vcc, s[8:9]
	v_cndmask_b32_e64 v2, v53, v35, s[8:9]
	v_bfi_b32 v2, s16, v13, v2
	v_readlane_b32 s0, v127, 48
	v_cndmask_b32_e32 v3, 0, v12, vcc
	v_cndmask_b32_e32 v4, v120, v2, vcc
	v_readlane_b32 s1, v127, 49
	v_writelane_b32 v127, s4, 52
	v_cndmask_b32_e64 v4, v2, v4, s[0:1]
	v_cndmask_b32_e64 v2, v12, v3, s[0:1]
	;; [unrolled: 1-line block ×3, first 2 shown]
	v_writelane_b32 v127, s5, 53
	v_bfi_b32 v3, s16, v31, v3
	v_readlane_b32 s6, v127, 8
	v_cndmask_b32_e64 v2, v2, 0, s[4:5]
	v_cndmask_b32_e64 v3, v4, v3, s[4:5]
	v_readlane_b32 s7, v127, 9
	s_mov_b32 s6, s84
	v_div_scale_f64 v[4:5], s[8:9], v[2:3], v[2:3], s[6:7]
	v_rcp_f64_e32 v[12:13], v[4:5]
	s_mov_b32 s9, s7
	v_writelane_b32 v127, s8, 8
	v_writelane_b32 v127, s9, 9
	v_fma_f64 v[32:33], -v[4:5], v[12:13], 1.0
	v_fmac_f64_e32 v[12:13], v[12:13], v[32:33]
	v_fma_f64 v[32:33], -v[4:5], v[12:13], 1.0
	v_fmac_f64_e32 v[12:13], v[12:13], v[32:33]
	v_div_scale_f64 v[32:33], vcc, s[6:7], v[2:3], s[6:7]
	v_mul_f64 v[36:37], v[32:33], v[12:13]
	v_fma_f64 v[4:5], -v[4:5], v[36:37], v[32:33]
	v_readlane_b32 s0, v127, 50
	s_nop 0
	v_div_fmas_f64 v[4:5], v[4:5], v[12:13], v[36:37]
	v_div_fixup_f64 v[2:3], v[4:5], v[2:3], s[6:7]
	v_add_f64 v[2:3], v[2:3], 1.0
	v_readlane_b32 s1, v127, 51
	v_cndmask_b32_e64 v43, v3, v120, s[0:1]
	v_cndmask_b32_e64 v42, v2, 0, s[0:1]
	s_mov_b32 s0, 0
	s_brev_b32 s1, 8
	v_cmp_gt_f64_e32 vcc, s[0:1], v[34:35]
	v_cndmask_b32_e64 v2, 0, 1, vcc
	v_lshlrev_b32_e32 v2, 8, v2
	v_ldexp_f64 v[2:3], v[34:35], v2
	v_rsq_f64_e32 v[4:5], v[2:3]
	s_mov_b32 s10, 0xd1b717
	s_mov_b32 s11, 0x3fe102de
	v_readlane_b32 s0, v127, 46
	v_mul_f64 v[12:13], v[2:3], v[4:5]
	v_mul_f64 v[4:5], v[4:5], 0.5
	v_fma_f64 v[32:33], -v[4:5], v[12:13], 0.5
	v_fmac_f64_e32 v[12:13], v[12:13], v[32:33]
	v_fma_f64 v[36:37], -v[12:13], v[12:13], v[2:3]
	v_fmac_f64_e32 v[4:5], v[4:5], v[32:33]
	v_fmac_f64_e32 v[12:13], v[36:37], v[4:5]
	v_fma_f64 v[32:33], -v[12:13], v[12:13], v[2:3]
	v_fmac_f64_e32 v[12:13], v[32:33], v[4:5]
	v_cndmask_b32_e32 v4, 0, v50, vcc
	v_ldexp_f64 v[4:5], v[12:13], v4
	v_cmp_class_f64_e32 vcc, v[2:3], v51
	v_cndmask_b32_e32 v3, v5, v3, vcc
	v_cndmask_b32_e32 v2, v4, v2, vcc
	v_div_scale_f64 v[4:5], s[8:9], v[2:3], v[2:3], s[10:11]
	v_rcp_f64_e32 v[12:13], v[4:5]
	v_readlane_b32 s1, v127, 47
	v_readlane_b32 s4, v127, 14
	;; [unrolled: 1-line block ×3, first 2 shown]
	v_fma_f64 v[32:33], -v[4:5], v[12:13], 1.0
	v_fmac_f64_e32 v[12:13], v[12:13], v[32:33]
	v_fma_f64 v[32:33], -v[4:5], v[12:13], 1.0
	v_fmac_f64_e32 v[12:13], v[12:13], v[32:33]
	v_div_scale_f64 v[32:33], vcc, s[10:11], v[2:3], s[10:11]
	v_mul_f64 v[36:37], v[32:33], v[12:13]
	v_fma_f64 v[4:5], -v[4:5], v[36:37], v[32:33]
	s_mov_b32 s6, 0
	s_nop 0
	v_div_fmas_f64 v[4:5], v[4:5], v[12:13], v[36:37]
	v_div_fixup_f64 v[2:3], v[4:5], v[2:3], s[10:11]
	v_add_f64 v[2:3], v[2:3], v[42:43]
	v_mul_f64 v[40:41], v[40:41], v[2:3]
	v_mov_b32_e32 v2, 0x3fd55555
	v_cndmask_b32_e64 v45, v2, v53, s[0:1]
	v_mul_f64 v[2:3], v[44:45], v[8:9]
	v_fma_f64 v[4:5], v[44:45], v[8:9], -v[2:3]
	v_fmac_f64_e32 v[4:5], v[44:45], v[38:39]
	v_add_f64 v[8:9], v[2:3], v[4:5]
	v_cmp_class_f64_e64 vcc, v[2:3], s52
	v_readlane_b32 s10, v127, 12
	v_add_f64 v[12:13], v[8:9], -v[2:3]
	v_cndmask_b32_e32 v3, v9, v3, vcc
	v_cndmask_b32_e32 v2, v8, v2, vcc
	v_readlane_b32 s11, v127, 13
	v_mul_f64 v[8:9], v[2:3], s[10:11]
	v_rndne_f64_e32 v[8:9], v[8:9]
	v_add_f64 v[4:5], v[4:5], -v[12:13]
	v_fma_f64 v[12:13], s[4:5], v[8:9], v[2:3]
	s_mov_b32 s0, 0x6a5dcb37
	v_fmac_f64_e32 v[12:13], s[2:3], v[8:9]
	s_mov_b32 s1, 0x3e5ade15
	v_fma_f64 v[32:33], s[0:1], v[12:13], v[10:11]
	s_mov_b32 s0, 0x623fde64
	s_mov_b32 s1, 0x3ec71dee
	v_fma_f64 v[32:33], v[12:13], v[32:33], s[0:1]
	s_mov_b32 s0, 0x7c89e6b0
	;; [unrolled: 3-line block ×4, first 2 shown]
	s_mov_b32 s1, 0x3f56c16c
	v_readlane_b32 s2, v127, 18
	v_fma_f64 v[32:33], v[12:13], v[32:33], s[0:1]
	v_readlane_b32 s3, v127, 19
	v_readlane_b32 s0, v127, 20
	v_fma_f64 v[32:33], v[12:13], v[32:33], s[2:3]
	v_readlane_b32 s1, v127, 21
	v_fma_f64 v[32:33], v[12:13], v[32:33], s[0:1]
	s_mov_b32 s0, 0x55555511
	s_mov_b32 s1, 0x3fc55555
	v_fma_f64 v[32:33], v[12:13], v[32:33], s[0:1]
	s_mov_b32 s0, 11
	s_mov_b32 s1, 0x3fe00000
	v_fma_f64 v[32:33], v[12:13], v[32:33], s[0:1]
	s_mov_b32 s0, 0
	v_cmp_neq_f64_e64 vcc, |v[2:3]|, s[46:47]
	v_fma_f64 v[32:33], v[12:13], v[32:33], 1.0
	s_mov_b32 s1, 0x40900000
	v_cndmask_b32_e32 v5, 0, v5, vcc
	v_cndmask_b32_e32 v4, 0, v4, vcc
	v_fma_f64 v[12:13], v[12:13], v[32:33], 1.0
	v_cvt_i32_f64_e32 v8, v[8:9]
	v_cmp_lt_f64_e32 vcc, s[0:1], v[2:3]
	s_mov_b32 s0, 0
	v_ldexp_f64 v[8:9], v[12:13], v8
	s_mov_b32 s1, 0xc090cc00
	v_cndmask_b32_e64 v12, v8, 0, vcc
	v_cndmask_b32_e32 v13, v9, v52, vcc
	v_cmp_ngt_f64_e64 s[0:1], s[0:1], v[2:3]
	v_and_b32_e32 v9, 0x7fffffff, v9
	v_cndmask_b32_e64 v3, 0, v13, s[0:1]
	v_cndmask_b32_e64 v2, 0, v12, s[0:1]
	v_cmp_eq_f64_e64 s[8:9], s[46:47], v[8:9]
	v_pk_mov_b32 v[12:13], v[2:3], v[2:3] op_sel:[0,1]
	s_or_b64 s[8:9], vcc, s[8:9]
	v_fmac_f64_e32 v[12:13], v[12:13], v[4:5]
	s_and_b64 vcc, s[0:1], s[8:9]
	v_cndmask_b32_e32 v8, v12, v2, vcc
	v_cndmask_b32_e32 v9, v13, v3, vcc
	v_trunc_f64_e32 v[2:3], v[44:45]
	v_cmp_eq_f64_e32 vcc, v[2:3], v[44:45]
	v_mul_f64 v[2:3], v[44:45], 0.5
	v_trunc_f64_e32 v[4:5], v[2:3]
	v_cmp_neq_f64_e64 s[0:1], v[4:5], v[2:3]
	s_and_b64 s[0:1], vcc, s[0:1]
	v_cndmask_b32_e64 v2, v53, v35, s[0:1]
	v_bfi_b32 v2, s16, v9, v2
	v_readlane_b32 s8, v127, 48
	v_cndmask_b32_e32 v3, 0, v8, vcc
	v_cndmask_b32_e32 v4, v120, v2, vcc
	v_readlane_b32 s9, v127, 49
	v_cndmask_b32_e64 v4, v2, v4, s[8:9]
	v_cndmask_b32_e64 v2, v8, v3, s[8:9]
	;; [unrolled: 1-line block ×3, first 2 shown]
	v_readlane_b32 s0, v127, 52
	v_bfi_b32 v3, s16, v31, v3
	v_readlane_b32 s1, v127, 53
	v_cndmask_b32_e64 v2, v2, 0, s[0:1]
	v_cndmask_b32_e64 v3, v4, v3, s[0:1]
	s_mov_b32 s0, 0xc84b5dcc
	s_mov_b32 s1, 0xbffe3d07
	v_mul_f64 v[2:3], v[2:3], s[0:1]
	v_readlane_b32 s0, v127, 50
	v_readlane_b32 s1, v127, 51
	v_cndmask_b32_e64 v3, v3, v120, s[0:1]
	v_cndmask_b32_e64 v2, v2, 0, s[0:1]
	v_mul_f64 v[4:5], v[2:3], s[10:11]
	v_rndne_f64_e32 v[4:5], v[4:5]
	v_readlane_b32 s10, v127, 16
	v_fma_f64 v[8:9], s[4:5], v[4:5], v[2:3]
	v_readlane_b32 s11, v127, 17
	s_mov_b32 s0, 0x6a5dcb37
	v_fmac_f64_e32 v[8:9], s[10:11], v[4:5]
	s_mov_b32 s1, 0x3e5ade15
	v_fma_f64 v[12:13], s[0:1], v[8:9], v[10:11]
	s_mov_b32 s0, 0x623fde64
	s_mov_b32 s1, 0x3ec71dee
	v_fma_f64 v[12:13], v[8:9], v[12:13], s[0:1]
	s_mov_b32 s0, 0x7c89e6b0
	;; [unrolled: 3-line block ×4, first 2 shown]
	s_mov_b32 s1, 0x3f56c16c
	v_fma_f64 v[12:13], v[8:9], v[12:13], s[0:1]
	v_readlane_b32 s8, v127, 20
	v_fma_f64 v[12:13], v[8:9], v[12:13], s[2:3]
	v_readlane_b32 s9, v127, 21
	s_mov_b32 s0, 0x55555511
	v_fma_f64 v[12:13], v[8:9], v[12:13], s[8:9]
	s_mov_b32 s1, 0x3fc55555
	v_fma_f64 v[12:13], v[8:9], v[12:13], s[0:1]
	s_mov_b32 s0, 11
	s_mov_b32 s1, 0x3fe00000
	v_fma_f64 v[12:13], v[8:9], v[12:13], s[0:1]
	s_mov_b32 s0, 0
	s_mov_b32 s1, 0x40900000
	v_fma_f64 v[12:13], v[8:9], v[12:13], 1.0
	v_cmp_nlt_f64_e32 vcc, s[0:1], v[2:3]
	s_mov_b32 s0, 0
	v_fma_f64 v[8:9], v[8:9], v[12:13], 1.0
	v_cvt_i32_f64_e32 v4, v[4:5]
	s_mov_b32 s1, 0xc090cc00
	v_ldexp_f64 v[4:5], v[8:9], v4
	v_cmp_ngt_f64_e64 s[0:1], s[0:1], v[2:3]
	v_cndmask_b32_e32 v5, v52, v5, vcc
	s_and_b64 vcc, s[0:1], vcc
	v_cndmask_b32_e32 v2, 0, v4, vcc
	v_cndmask_b32_e64 v3, 0, v5, s[0:1]
	v_mul_f64 v[2:3], v[40:41], v[2:3]
	v_mul_f64 v[8:9], v[2:3], v[24:25]
	;; [unrolled: 1-line block ×3, first 2 shown]
	s_mov_b32 s2, 0x380646ba
	v_mul_f64 v[2:3], v[18:19], v[2:3]
	s_mov_b32 s3, 0x3a8067c6
	s_mov_b32 vcc_lo, 0xf3a00000
	v_mul_f64 v[2:3], v[2:3], s[2:3]
	s_mov_b32 vcc_hi, 0x421beb9b
	v_div_scale_f64 v[4:5], s[0:1], vcc, vcc, v[2:3]
	v_rcp_f64_e32 v[12:13], v[4:5]
	s_mov_b32 s0, 0xf3a00000
	s_mov_b32 s1, 0x421beb9b
	s_brev_b32 s7, 8
	v_fma_f64 v[22:23], -v[4:5], v[12:13], 1.0
	v_fmac_f64_e32 v[12:13], v[12:13], v[22:23]
	v_fma_f64 v[22:23], -v[4:5], v[12:13], 1.0
	v_fmac_f64_e32 v[12:13], v[12:13], v[22:23]
	v_div_scale_f64 v[22:23], vcc, v[2:3], vcc, v[2:3]
	v_mul_f64 v[24:25], v[22:23], v[12:13]
	v_fma_f64 v[4:5], -v[4:5], v[24:25], v[22:23]
	s_nop 1
	v_div_fmas_f64 v[4:5], v[4:5], v[12:13], v[24:25]
	v_div_fixup_f64 v[2:3], v[4:5], s[0:1], v[2:3]
	v_div_scale_f64 v[4:5], s[0:1], s[0:1], s[0:1], v[2:3]
	v_rcp_f64_e32 v[12:13], v[4:5]
	s_mov_b32 s0, 0xf3a00000
	s_mov_b32 s1, 0x421beb9b
	v_fma_f64 v[22:23], -v[4:5], v[12:13], 1.0
	v_fmac_f64_e32 v[12:13], v[12:13], v[22:23]
	v_fma_f64 v[22:23], -v[4:5], v[12:13], 1.0
	v_fmac_f64_e32 v[12:13], v[12:13], v[22:23]
	v_div_scale_f64 v[22:23], vcc, v[2:3], s[0:1], v[2:3]
	v_mul_f64 v[24:25], v[22:23], v[12:13]
	v_fma_f64 v[4:5], -v[4:5], v[24:25], v[22:23]
	s_nop 1
	v_div_fmas_f64 v[4:5], v[4:5], v[12:13], v[24:25]
	v_div_fixup_f64 v[22:23], v[4:5], s[0:1], v[2:3]
	v_mul_f64 v[2:3], v[18:19], s[2:3]
	s_mov_b32 s2, 0x9cd9fbd6
	s_mov_b32 s3, 0x3ca3e5ba
	v_div_scale_f64 v[4:5], s[0:1], s[2:3], s[2:3], v[2:3]
	v_rcp_f64_e32 v[12:13], v[4:5]
	v_fma_f64 v[24:25], -v[4:5], v[12:13], 1.0
	v_fmac_f64_e32 v[12:13], v[12:13], v[24:25]
	v_fma_f64 v[24:25], -v[4:5], v[12:13], 1.0
	v_fmac_f64_e32 v[12:13], v[12:13], v[24:25]
	v_div_scale_f64 v[24:25], vcc, v[2:3], s[2:3], v[2:3]
	v_mul_f64 v[32:33], v[24:25], v[12:13]
	v_fma_f64 v[4:5], -v[4:5], v[32:33], v[24:25]
	s_nop 1
	v_div_fmas_f64 v[4:5], v[4:5], v[12:13], v[32:33]
	v_div_fixup_f64 v[2:3], v[4:5], s[2:3], v[2:3]
	v_div_scale_f64 v[4:5], s[0:1], v[0:1], v[0:1], v[2:3]
	v_rcp_f64_e32 v[12:13], v[4:5]
	v_readlane_b32 s0, v127, 12
	v_readlane_b32 s1, v127, 13
	;; [unrolled: 1-line block ×3, first 2 shown]
	v_fma_f64 v[24:25], -v[4:5], v[12:13], 1.0
	v_fmac_f64_e32 v[12:13], v[12:13], v[24:25]
	v_fma_f64 v[24:25], -v[4:5], v[12:13], 1.0
	v_fmac_f64_e32 v[12:13], v[12:13], v[24:25]
	v_div_scale_f64 v[24:25], vcc, v[2:3], v[0:1], v[2:3]
	v_mul_f64 v[32:33], v[24:25], v[12:13]
	v_fma_f64 v[4:5], -v[4:5], v[32:33], v[24:25]
	v_readlane_b32 s3, v127, 19
	s_nop 0
	v_div_fmas_f64 v[4:5], v[4:5], v[12:13], v[32:33]
	v_div_fixup_f64 v[0:1], v[4:5], v[0:1], v[2:3]
	v_mul_f64 v[2:3], v[0:1], s[0:1]
	v_rndne_f64_e32 v[2:3], v[2:3]
	v_fma_f64 v[4:5], s[4:5], v[2:3], v[0:1]
	s_mov_b32 s0, 0x6a5dcb37
	v_fmac_f64_e32 v[4:5], s[10:11], v[2:3]
	s_mov_b32 s1, 0x3e5ade15
	v_fma_f64 v[12:13], s[0:1], v[4:5], v[10:11]
	s_mov_b32 s0, 0x623fde64
	s_mov_b32 s1, 0x3ec71dee
	v_fma_f64 v[12:13], v[4:5], v[12:13], s[0:1]
	s_mov_b32 s0, 0x7c89e6b0
	;; [unrolled: 3-line block ×4, first 2 shown]
	s_mov_b32 s1, 0x3f56c16c
	v_fma_f64 v[12:13], v[4:5], v[12:13], s[0:1]
	s_mov_b64 s[4:5], s[10:11]
	v_fma_f64 v[12:13], v[4:5], v[12:13], s[2:3]
	s_mov_b32 s10, 0x55555511
	v_fma_f64 v[12:13], v[4:5], v[12:13], s[8:9]
	s_mov_b32 s11, 0x3fc55555
	s_mov_b32 s0, 11
	v_fma_f64 v[12:13], v[4:5], v[12:13], s[10:11]
	s_mov_b32 s1, 0x3fe00000
	v_fma_f64 v[12:13], v[4:5], v[12:13], s[0:1]
	s_mov_b32 s0, 0
	v_fma_f64 v[12:13], v[4:5], v[12:13], 1.0
	s_mov_b32 s1, 0x40900000
	v_fma_f64 v[4:5], v[4:5], v[12:13], 1.0
	v_cvt_i32_f64_e32 v2, v[2:3]
	v_cmp_nlt_f64_e32 vcc, s[0:1], v[0:1]
	s_mov_b32 s0, 0
	v_ldexp_f64 v[2:3], v[4:5], v2
	s_mov_b32 s1, 0xc090cc00
	v_add_f64 v[2:3], v[2:3], -1.0
	v_cmp_ngt_f64_e64 s[0:1], s[0:1], v[0:1]
	v_cndmask_b32_e32 v3, v52, v3, vcc
	s_and_b64 vcc, s[0:1], vcc
	v_mov_b32_e32 v1, 0xbff00000
	v_cndmask_b32_e32 v0, 0, v2, vcc
	v_cndmask_b32_e64 v1, v1, v3, s[0:1]
	v_div_scale_f64 v[2:3], s[0:1], v[0:1], v[0:1], v[22:23]
	v_rcp_f64_e32 v[4:5], v[2:3]
	s_mov_b32 s0, 0
	s_mov_b32 s1, 0x41506738
	v_fma_f64 v[12:13], -v[2:3], v[4:5], 1.0
	v_fmac_f64_e32 v[4:5], v[4:5], v[12:13]
	v_fma_f64 v[12:13], -v[2:3], v[4:5], 1.0
	v_fmac_f64_e32 v[4:5], v[4:5], v[12:13]
	v_div_scale_f64 v[12:13], vcc, v[22:23], v[0:1], v[22:23]
	v_mul_f64 v[24:25], v[12:13], v[4:5]
	v_fma_f64 v[2:3], -v[2:3], v[24:25], v[12:13]
	s_nop 1
	v_div_fmas_f64 v[2:3], v[2:3], v[4:5], v[24:25]
	v_div_fixup_f64 v[0:1], v[2:3], v[0:1], v[22:23]
	buffer_load_dword v2, off, s[96:99], 0 offset:184 ; 4-byte Folded Reload
	buffer_load_dword v3, off, s[96:99], 0 offset:188 ; 4-byte Folded Reload
	s_waitcnt vmcnt(0)
	v_mul_f64 v[2:3], v[2:3], s[0:1]
	s_mov_b32 s0, 0
	s_mov_b32 s1, 0x410208e0
	v_mul_f64 v[2:3], v[2:3], s[0:1]
	v_mul_f64 v[2:3], v[2:3], v[8:9]
	v_div_scale_f64 v[4:5], s[0:1], v[0:1], v[0:1], v[2:3]
	v_rcp_f64_e32 v[8:9], v[4:5]
	v_fma_f64 v[12:13], -v[4:5], v[8:9], 1.0
	v_fmac_f64_e32 v[8:9], v[8:9], v[12:13]
	v_fma_f64 v[12:13], -v[4:5], v[8:9], 1.0
	v_fmac_f64_e32 v[8:9], v[8:9], v[12:13]
	v_div_scale_f64 v[12:13], vcc, v[2:3], v[0:1], v[2:3]
	v_mul_f64 v[22:23], v[12:13], v[8:9]
	v_fma_f64 v[4:5], -v[4:5], v[22:23], v[12:13]
	s_nop 1
	v_div_fmas_f64 v[4:5], v[4:5], v[8:9], v[22:23]
	buffer_load_dword v22, off, s[96:99], 0 offset:360 ; 4-byte Folded Reload
	buffer_load_dword v23, off, s[96:99], 0 offset:364 ; 4-byte Folded Reload
	v_div_fixup_f64 v[0:1], v[4:5], v[0:1], v[2:3]
	s_waitcnt vmcnt(0)
	v_fma_f64 v[22:23], -v[16:17], v[0:1], v[22:23]
	v_div_scale_f64 v[0:1], s[0:1], v[18:19], v[18:19], v[2:3]
	v_rcp_f64_e32 v[4:5], v[0:1]
	v_fma_f64 v[8:9], -v[0:1], v[4:5], 1.0
	v_fmac_f64_e32 v[4:5], v[4:5], v[8:9]
	v_fma_f64 v[8:9], -v[0:1], v[4:5], 1.0
	v_fmac_f64_e32 v[4:5], v[4:5], v[8:9]
	v_div_scale_f64 v[8:9], vcc, v[2:3], v[18:19], v[2:3]
	v_mul_f64 v[12:13], v[8:9], v[4:5]
	v_fma_f64 v[0:1], -v[0:1], v[12:13], v[8:9]
	s_nop 1
	v_div_fmas_f64 v[0:1], v[0:1], v[4:5], v[12:13]
	v_div_fixup_f64 v[0:1], v[0:1], v[18:19], v[2:3]
	v_div_scale_f64 v[2:3], s[0:1], v[18:19], v[18:19], v[0:1]
	v_rcp_f64_e32 v[4:5], v[2:3]
	v_fma_f64 v[8:9], -v[2:3], v[4:5], 1.0
	v_fmac_f64_e32 v[4:5], v[4:5], v[8:9]
	v_fma_f64 v[8:9], -v[2:3], v[4:5], 1.0
	v_fmac_f64_e32 v[4:5], v[4:5], v[8:9]
	v_div_scale_f64 v[8:9], vcc, v[0:1], v[18:19], v[0:1]
	v_mul_f64 v[12:13], v[8:9], v[4:5]
	v_fma_f64 v[2:3], -v[2:3], v[12:13], v[8:9]
	s_nop 1
	v_div_fmas_f64 v[2:3], v[2:3], v[4:5], v[12:13]
	v_div_fixup_f64 v[0:1], v[2:3], v[18:19], v[0:1]
	v_div_scale_f64 v[2:3], s[0:1], v[18:19], v[18:19], v[0:1]
	v_rcp_f64_e32 v[4:5], v[2:3]
	s_mov_b32 s0, 0x652b82fe
	s_mov_b32 s1, 0xbff71547
	v_fma_f64 v[8:9], -v[2:3], v[4:5], 1.0
	v_fmac_f64_e32 v[4:5], v[4:5], v[8:9]
	v_fma_f64 v[8:9], -v[2:3], v[4:5], 1.0
	v_fmac_f64_e32 v[4:5], v[4:5], v[8:9]
	v_div_scale_f64 v[8:9], vcc, v[0:1], v[18:19], v[0:1]
	v_mul_f64 v[12:13], v[8:9], v[4:5]
	v_fma_f64 v[2:3], -v[2:3], v[12:13], v[8:9]
	s_nop 1
	v_div_fmas_f64 v[2:3], v[2:3], v[4:5], v[12:13]
	v_div_fixup_f64 v[0:1], v[2:3], v[18:19], v[0:1]
	v_mul_f64 v[2:3], v[22:23], s[0:1]
	v_readlane_b32 s0, v127, 14
	v_rndne_f64_e32 v[2:3], v[2:3]
	v_readlane_b32 s1, v127, 15
	v_fma_f64 v[4:5], v[2:3], s[0:1], -v[22:23]
	s_mov_b64 s[0:1], s[4:5]
	v_fmac_f64_e32 v[4:5], s[0:1], v[2:3]
	s_mov_b32 s0, 0x6a5dcb37
	s_mov_b32 s1, 0x3e5ade15
	v_fma_f64 v[8:9], s[0:1], v[4:5], v[10:11]
	s_mov_b32 s0, 0x623fde64
	s_mov_b32 s1, 0x3ec71dee
	v_fma_f64 v[8:9], v[4:5], v[8:9], s[0:1]
	;; [unrolled: 3-line block ×5, first 2 shown]
	v_fma_f64 v[8:9], v[4:5], v[8:9], s[2:3]
	v_fma_f64 v[8:9], v[4:5], v[8:9], s[8:9]
	s_mov_b32 s0, 11
	v_fma_f64 v[8:9], v[4:5], v[8:9], s[10:11]
	s_mov_b32 s1, 0x3fe00000
	v_fma_f64 v[8:9], v[4:5], v[8:9], s[0:1]
	s_mov_b32 s0, 0
	s_mov_b32 s1, 0xc0900000
	v_cmp_ngt_f64_e32 vcc, s[0:1], v[22:23]
	buffer_store_dword v22, off, s[96:99], 0 offset:360 ; 4-byte Folded Spill
	s_nop 0
	buffer_store_dword v23, off, s[96:99], 0 offset:364 ; 4-byte Folded Spill
	v_fma_f64 v[8:9], v[4:5], v[8:9], 1.0
	s_mov_b32 s0, 0
	v_fma_f64 v[4:5], v[4:5], v[8:9], 1.0
	v_cvt_i32_f64_e32 v2, v[2:3]
	s_mov_b32 s1, 0x4090cc00
	v_ldexp_f64 v[2:3], v[4:5], v2
	v_cndmask_b32_e32 v3, v52, v3, vcc
	v_cmp_nlt_f64_e64 s[0:1], s[0:1], v[22:23]
	s_and_b64 vcc, s[0:1], vcc
	v_cndmask_b32_e32 v2, 0, v2, vcc
	v_cndmask_b32_e64 v3, 0, v3, s[0:1]
	v_mul_f64 v[0:1], v[0:1], v[2:3]
	buffer_load_dword v2, off, s[96:99], 0 offset:352 ; 4-byte Folded Reload
	buffer_load_dword v3, off, s[96:99], 0 offset:356 ; 4-byte Folded Reload
	s_xor_b64 s[0:1], exec, -1
	s_waitcnt vmcnt(0)
	v_fma_f64 v[0:1], -v[16:17], v[0:1], v[2:3]
.LBB1_78:                               ;   in Loop: Header=BB1_79 Depth=1
	v_readlane_b32 s2, v127, 36
	v_readlane_b32 s3, v127, 37
	s_or_b64 exec, exec, s[2:3]
	v_readlane_b32 s2, v127, 24
	s_and_b64 s[0:1], exec, s[0:1]
	v_readlane_b32 s3, v127, 25
	s_or_b64 s[2:3], s[0:1], s[2:3]
	v_writelane_b32 v127, s2, 24
	v_writelane_b32 v127, s3, 25
	s_andn2_b64 exec, exec, s[2:3]
	s_cbranch_execz .LBB1_174
.LBB1_79:                               ; =>This Loop Header: Depth=1
                                        ;     Child Loop BB1_81 Depth 2
                                        ;       Child Loop BB1_93 Depth 3
	s_mov_b64 s[0:1], 0
	v_writelane_b32 v127, s0, 32
	v_writelane_b32 v127, s1, 33
	buffer_store_dword v0, off, s[96:99], 0 offset:352 ; 4-byte Folded Spill
	s_nop 0
	buffer_store_dword v1, off, s[96:99], 0 offset:356 ; 4-byte Folded Spill
                                        ; implicit-def: $sgpr4_sgpr5
	s_branch .LBB1_81
.LBB1_80:                               ;   in Loop: Header=BB1_81 Depth=2
	s_or_b64 exec, exec, s[0:1]
	s_xor_b64 s[0:1], s[4:5], -1
	v_readlane_b32 s8, v127, 32
	s_and_b64 s[2:3], exec, s[2:3]
	v_readlane_b32 s9, v127, 33
	s_or_b64 s[8:9], s[2:3], s[8:9]
	v_readlane_b32 s2, v127, 34
	v_readlane_b32 s3, v127, 35
	s_andn2_b64 s[2:3], s[2:3], exec
	s_and_b64 s[0:1], s[0:1], exec
	v_writelane_b32 v127, s8, 32
	s_or_b64 s[4:5], s[2:3], s[0:1]
	v_writelane_b32 v127, s9, 33
	s_andn2_b64 exec, exec, s[8:9]
	s_cbranch_execz .LBB1_147
.LBB1_81:                               ;   Parent Loop BB1_79 Depth=1
                                        ; =>  This Loop Header: Depth=2
                                        ;       Child Loop BB1_93 Depth 3
	v_writelane_b32 v127, s4, 34
	v_writelane_b32 v127, s5, 35
	v_cmp_nlt_f64_e64 s[2:3], |v[102:103]|, s[20:21]
	v_trig_preop_f64 v[18:19], |v[102:103]|, 0
	v_trig_preop_f64 v[16:17], |v[102:103]|, 1
	v_ldexp_f64 v[22:23], |v[102:103]|, s36
	v_trig_preop_f64 v[10:11], |v[102:103]|, 2
	v_and_b32_e32 v32, 0x7fffffff, v103
	buffer_store_dword v72, off, s[96:99], 0 offset:184 ; 4-byte Folded Spill
	s_nop 0
	buffer_store_dword v73, off, s[96:99], 0 offset:188 ; 4-byte Folded Spill
                                        ; implicit-def: $vgpr31
                                        ; implicit-def: $vgpr0_vgpr1
                                        ; implicit-def: $vgpr8_vgpr9
	s_and_saveexec_b64 s[0:1], s[2:3]
	s_xor_b64 s[8:9], exec, s[0:1]
	s_cbranch_execz .LBB1_83
; %bb.82:                               ;   in Loop: Header=BB1_81 Depth=2
	v_cmp_ge_f64_e64 vcc, |v[102:103]|, s[64:65]
	v_cndmask_b32_e32 v1, v32, v23, vcc
	v_cndmask_b32_e32 v0, v102, v22, vcc
	v_mul_f64 v[24:25], v[18:19], v[0:1]
	v_mul_f64 v[8:9], v[16:17], v[0:1]
	v_fma_f64 v[34:35], v[18:19], v[0:1], -v[24:25]
	v_add_f64 v[38:39], v[8:9], v[34:35]
	v_add_f64 v[40:41], v[24:25], v[38:39]
	v_ldexp_f64 v[42:43], v[40:41], -2
	v_fract_f64_e32 v[44:45], v[42:43]
	v_cmp_neq_f64_e64 vcc, |v[42:43]|, s[46:47]
	v_cndmask_b32_e32 v43, 0, v45, vcc
	v_cndmask_b32_e32 v42, 0, v44, vcc
	v_add_f64 v[44:45], v[38:39], -v[8:9]
	v_add_f64 v[34:35], v[34:35], -v[44:45]
	;; [unrolled: 1-line block ×4, first 2 shown]
	v_add_f64 v[34:35], v[34:35], v[44:45]
	v_fma_f64 v[8:9], v[16:17], v[0:1], -v[8:9]
	v_mul_f64 v[44:45], v[10:11], v[0:1]
	v_add_f64 v[46:47], v[44:45], v[8:9]
	v_add_f64 v[48:49], v[46:47], v[34:35]
	v_add_f64 v[24:25], v[40:41], -v[24:25]
	v_add_f64 v[40:41], v[48:49], -v[46:47]
	v_add_f64 v[34:35], v[34:35], -v[40:41]
	v_add_f64 v[40:41], v[48:49], -v[40:41]
	v_add_f64 v[40:41], v[46:47], -v[40:41]
	v_add_f64 v[34:35], v[34:35], v[40:41]
	v_add_f64 v[40:41], v[46:47], -v[44:45]
	v_add_f64 v[8:9], v[8:9], -v[40:41]
	;; [unrolled: 1-line block ×5, first 2 shown]
	v_add_f64 v[38:39], v[24:25], v[48:49]
	v_add_f64 v[8:9], v[8:9], v[40:41]
	v_add_f64 v[24:25], v[38:39], -v[24:25]
	v_add_f64 v[8:9], v[8:9], v[34:35]
	v_fma_f64 v[0:1], v[10:11], v[0:1], -v[44:45]
	v_add_f64 v[24:25], v[48:49], -v[24:25]
	v_add_f64 v[0:1], v[0:1], v[8:9]
	v_ldexp_f64 v[8:9], v[42:43], 2
	v_add_f64 v[0:1], v[24:25], v[0:1]
	v_add_f64 v[24:25], v[38:39], v[8:9]
	v_cmp_gt_f64_e32 vcc, 0, v[24:25]
	v_mov_b32_e32 v2, 0x40100000
	v_cndmask_b32_e32 v21, 0, v2, vcc
	v_add_f64 v[8:9], v[8:9], v[20:21]
	v_add_f64 v[24:25], v[38:39], v[8:9]
	v_cvt_i32_f64_e32 v2, v[24:25]
	v_cvt_f64_i32_e32 v[24:25], v2
	v_add_f64 v[8:9], v[8:9], -v[24:25]
	v_add_f64 v[24:25], v[38:39], v[8:9]
	v_add_f64 v[8:9], v[24:25], -v[8:9]
	v_cmp_le_f64_e32 vcc, 0.5, v[24:25]
	v_add_f64 v[8:9], v[38:39], -v[8:9]
	v_cndmask_b32_e32 v21, 0, v126, vcc
	v_add_f64 v[0:1], v[0:1], v[8:9]
	v_add_f64 v[8:9], v[24:25], -v[20:21]
	v_add_f64 v[24:25], v[8:9], v[0:1]
	v_add_f64 v[8:9], v[24:25], -v[8:9]
	s_mov_b32 s16, s14
	v_add_f64 v[0:1], v[0:1], -v[8:9]
	v_mul_f64 v[8:9], v[24:25], s[16:17]
	v_fma_f64 v[34:35], v[24:25], s[16:17], -v[8:9]
	s_mov_b32 s79, s77
	v_fmac_f64_e32 v[34:35], s[78:79], v[24:25]
	v_fmac_f64_e32 v[34:35], s[16:17], v[0:1]
	v_add_f64 v[0:1], v[8:9], v[34:35]
	v_add_f64 v[8:9], v[0:1], -v[8:9]
	v_addc_co_u32_e64 v31, s[0:1], 0, v2, vcc
	v_add_f64 v[8:9], v[34:35], -v[8:9]
	s_andn2_saveexec_b64 s[0:1], s[8:9]
	s_cbranch_execz .LBB1_85
	s_branch .LBB1_84
.LBB1_83:                               ;   in Loop: Header=BB1_81 Depth=2
	s_andn2_saveexec_b64 s[0:1], s[8:9]
	s_cbranch_execz .LBB1_85
.LBB1_84:                               ;   in Loop: Header=BB1_81 Depth=2
	v_mul_f64 v[0:1], |v[102:103]|, s[80:81]
	v_rndne_f64_e32 v[24:25], v[0:1]
	v_fma_f64 v[0:1], v[24:25], s[14:15], |v[102:103]|
	v_mul_f64 v[34:35], v[24:25], s[82:83]
	v_add_f64 v[40:41], v[0:1], v[34:35]
	v_fma_f64 v[8:9], s[82:83], v[24:25], v[0:1]
	s_mov_b32 s76, s82
	v_add_f64 v[0:1], v[0:1], -v[40:41]
	v_fma_f64 v[38:39], s[76:77], v[24:25], v[34:35]
	v_add_f64 v[0:1], v[0:1], v[34:35]
	v_add_f64 v[34:35], v[40:41], -v[8:9]
	v_add_f64 v[0:1], v[34:35], v[0:1]
	v_add_f64 v[34:35], v[0:1], -v[38:39]
	v_fmac_f64_e32 v[34:35], s[88:89], v[24:25]
	v_add_f64 v[0:1], v[8:9], v[34:35]
	v_add_f64 v[8:9], v[0:1], -v[8:9]
	v_add_f64 v[8:9], v[34:35], -v[8:9]
	v_cvt_i32_f64_e32 v31, v[24:25]
.LBB1_85:                               ;   in Loop: Header=BB1_81 Depth=2
	s_or_b64 exec, exec, s[0:1]
                                        ; implicit-def: $vgpr33
                                        ; implicit-def: $vgpr24_vgpr25
                                        ; implicit-def: $vgpr34_vgpr35
	s_and_saveexec_b64 s[0:1], s[2:3]
	s_xor_b64 s[2:3], exec, s[0:1]
	s_cbranch_execz .LBB1_87
; %bb.86:                               ;   in Loop: Header=BB1_81 Depth=2
	v_cmp_ge_f64_e64 vcc, |v[102:103]|, s[64:65]
	v_cndmask_b32_e32 v23, v32, v23, vcc
	v_cndmask_b32_e32 v22, v102, v22, vcc
	v_mul_f64 v[32:33], v[18:19], v[22:23]
	v_mul_f64 v[24:25], v[16:17], v[22:23]
	v_fma_f64 v[18:19], v[18:19], v[22:23], -v[32:33]
	v_add_f64 v[34:35], v[24:25], v[18:19]
	v_add_f64 v[38:39], v[32:33], v[34:35]
	v_ldexp_f64 v[40:41], v[38:39], -2
	v_fract_f64_e32 v[42:43], v[40:41]
	v_cmp_neq_f64_e64 vcc, |v[40:41]|, s[46:47]
	v_cndmask_b32_e32 v41, 0, v43, vcc
	v_cndmask_b32_e32 v40, 0, v42, vcc
	v_add_f64 v[42:43], v[34:35], -v[24:25]
	v_add_f64 v[18:19], v[18:19], -v[42:43]
	v_add_f64 v[42:43], v[34:35], -v[42:43]
	v_add_f64 v[42:43], v[24:25], -v[42:43]
	v_fma_f64 v[16:17], v[16:17], v[22:23], -v[24:25]
	v_mul_f64 v[24:25], v[10:11], v[22:23]
	v_add_f64 v[18:19], v[18:19], v[42:43]
	v_add_f64 v[42:43], v[24:25], v[16:17]
	;; [unrolled: 1-line block ×3, first 2 shown]
	v_add_f64 v[32:33], v[38:39], -v[32:33]
	v_add_f64 v[38:39], v[44:45], -v[42:43]
	;; [unrolled: 1-line block ×5, first 2 shown]
	v_add_f64 v[18:19], v[18:19], v[38:39]
	v_add_f64 v[38:39], v[42:43], -v[24:25]
	v_add_f64 v[16:17], v[16:17], -v[38:39]
	;; [unrolled: 1-line block ×4, first 2 shown]
	v_add_f64 v[16:17], v[16:17], v[38:39]
	v_add_f64 v[32:33], v[34:35], -v[32:33]
	v_add_f64 v[16:17], v[16:17], v[18:19]
	v_fma_f64 v[10:11], v[10:11], v[22:23], -v[24:25]
	v_add_f64 v[34:35], v[32:33], v[44:45]
	v_add_f64 v[10:11], v[10:11], v[16:17]
	v_ldexp_f64 v[16:17], v[40:41], 2
	v_add_f64 v[18:19], v[34:35], v[16:17]
	v_cmp_gt_f64_e32 vcc, 0, v[18:19]
	v_mov_b32_e32 v2, 0x40100000
	v_cndmask_b32_e32 v21, 0, v2, vcc
	v_add_f64 v[16:17], v[16:17], v[20:21]
	v_add_f64 v[18:19], v[34:35], v[16:17]
	v_cvt_i32_f64_e32 v2, v[18:19]
	v_cvt_f64_i32_e32 v[18:19], v2
	v_add_f64 v[16:17], v[16:17], -v[18:19]
	v_add_f64 v[32:33], v[34:35], -v[32:33]
	v_add_f64 v[18:19], v[34:35], v[16:17]
	v_add_f64 v[32:33], v[44:45], -v[32:33]
	v_add_f64 v[16:17], v[18:19], -v[16:17]
	v_cmp_le_f64_e32 vcc, 0.5, v[18:19]
	v_add_f64 v[10:11], v[32:33], v[10:11]
	v_add_f64 v[16:17], v[34:35], -v[16:17]
	v_cndmask_b32_e32 v21, 0, v126, vcc
	v_add_f64 v[10:11], v[10:11], v[16:17]
	v_add_f64 v[16:17], v[18:19], -v[20:21]
	v_add_f64 v[18:19], v[16:17], v[10:11]
	v_add_f64 v[16:17], v[18:19], -v[16:17]
	s_mov_b32 s16, s14
	v_add_f64 v[10:11], v[10:11], -v[16:17]
	v_mul_f64 v[16:17], v[18:19], s[16:17]
	v_fma_f64 v[22:23], v[18:19], s[16:17], -v[16:17]
	s_mov_b32 s79, s77
	v_fmac_f64_e32 v[22:23], s[78:79], v[18:19]
	v_fmac_f64_e32 v[22:23], s[16:17], v[10:11]
	v_add_f64 v[24:25], v[16:17], v[22:23]
	v_add_f64 v[10:11], v[24:25], -v[16:17]
	v_addc_co_u32_e64 v33, s[0:1], 0, v2, vcc
	v_add_f64 v[34:35], v[22:23], -v[10:11]
	s_andn2_saveexec_b64 s[0:1], s[2:3]
	s_cbranch_execnz .LBB1_88
	s_branch .LBB1_89
.LBB1_87:                               ;   in Loop: Header=BB1_81 Depth=2
	s_andn2_saveexec_b64 s[0:1], s[2:3]
	s_cbranch_execz .LBB1_89
.LBB1_88:                               ;   in Loop: Header=BB1_81 Depth=2
	v_mul_f64 v[10:11], |v[102:103]|, s[80:81]
	v_rndne_f64_e32 v[10:11], v[10:11]
	v_fma_f64 v[16:17], v[10:11], s[14:15], |v[102:103]|
	v_mul_f64 v[22:23], v[10:11], s[82:83]
	v_add_f64 v[32:33], v[16:17], v[22:23]
	v_fma_f64 v[18:19], s[82:83], v[10:11], v[16:17]
	s_mov_b32 s76, s82
	v_add_f64 v[16:17], v[16:17], -v[32:33]
	v_fma_f64 v[24:25], s[76:77], v[10:11], v[22:23]
	v_add_f64 v[16:17], v[16:17], v[22:23]
	v_add_f64 v[22:23], v[32:33], -v[18:19]
	v_add_f64 v[16:17], v[22:23], v[16:17]
	v_add_f64 v[16:17], v[16:17], -v[24:25]
	v_fmac_f64_e32 v[16:17], s[88:89], v[10:11]
	v_add_f64 v[24:25], v[18:19], v[16:17]
	v_add_f64 v[18:19], v[24:25], -v[18:19]
	v_add_f64 v[34:35], v[16:17], -v[18:19]
	v_cvt_i32_f64_e32 v33, v[10:11]
.LBB1_89:                               ;   in Loop: Header=BB1_81 Depth=2
	s_or_b64 exec, exec, s[0:1]
	s_mov_b32 s2, 0xb42fdfa7
	s_mov_b32 s3, 0xbe5ae600
	v_mul_f64 v[10:11], v[0:1], v[0:1]
	v_pk_mov_b32 v[18:19], s[2:3], s[2:3] op_sel:[0,1]
	v_fma_f64 v[22:23], s[38:39], v[10:11], v[18:19]
	v_fma_f64 v[22:23], v[10:11], v[22:23], s[40:41]
	;; [unrolled: 1-line block ×3, first 2 shown]
	s_mov_b32 s2, 0x9037ab78
	v_mul_f64 v[16:17], v[0:1], -v[10:11]
	v_fma_f64 v[22:23], v[10:11], v[22:23], s[44:45]
	v_mul_f64 v[38:39], v[8:9], 0.5
	s_mov_b32 s3, 0x3e21eeb6
	v_fmac_f64_e32 v[38:39], v[16:17], v[22:23]
	v_pk_mov_b32 v[42:43], s[2:3], s[2:3] op_sel:[0,1]
	v_fma_f64 v[22:23], v[10:11], v[38:39], -v[8:9]
	v_fma_f64 v[44:45], s[22:23], v[10:11], v[42:43]
	v_fmac_f64_e32 v[22:23], s[34:35], v[16:17]
	v_fma_f64 v[44:45], v[10:11], v[44:45], s[24:25]
	v_add_f64 v[16:17], v[0:1], -v[22:23]
	v_mul_f64 v[22:23], v[10:11], 0.5
	v_fma_f64 v[44:45], v[10:11], v[44:45], s[26:27]
	v_add_f64 v[38:39], -v[22:23], 1.0
	v_fma_f64 v[44:45], v[10:11], v[44:45], s[28:29]
	v_mul_f64 v[40:41], v[10:11], v[10:11]
	v_fma_f64 v[10:11], v[10:11], v[44:45], s[30:31]
	v_add_f64 v[44:45], -v[38:39], 1.0
	v_add_f64 v[22:23], v[44:45], -v[22:23]
	v_fma_f64 v[0:1], v[0:1], -v[8:9], v[22:23]
	v_and_b32_e32 v2, 1, v31
	v_fmac_f64_e32 v[0:1], v[40:41], v[10:11]
	v_mul_f64 v[8:9], v[24:25], v[24:25]
	v_cmp_eq_u32_e64 s[0:1], 0, v2
	v_add_f64 v[0:1], v[38:39], v[0:1]
	v_mul_f64 v[10:11], v[8:9], 0.5
	v_fma_f64 v[38:39], s[22:23], v[8:9], v[42:43]
	v_cndmask_b32_e64 v0, v0, v16, s[0:1]
	v_cndmask_b32_e64 v1, v1, v17, s[0:1]
	v_add_f64 v[16:17], -v[10:11], 1.0
	v_fma_f64 v[38:39], v[8:9], v[38:39], s[24:25]
	v_add_f64 v[22:23], -v[16:17], 1.0
	v_fma_f64 v[38:39], v[8:9], v[38:39], s[26:27]
	v_add_f64 v[10:11], v[22:23], -v[10:11]
	v_fma_f64 v[38:39], v[8:9], v[38:39], s[28:29]
	v_mul_f64 v[22:23], v[8:9], v[8:9]
	v_fma_f64 v[38:39], v[8:9], v[38:39], s[30:31]
	v_fma_f64 v[10:11], v[24:25], -v[34:35], v[10:11]
	v_fmac_f64_e32 v[10:11], v[22:23], v[38:39]
	v_add_f64 v[10:11], v[16:17], v[10:11]
	v_fma_f64 v[16:17], s[38:39], v[8:9], v[18:19]
	v_fma_f64 v[16:17], v[8:9], v[16:17], s[40:41]
	;; [unrolled: 1-line block ×4, first 2 shown]
	v_mul_f64 v[18:19], v[24:25], -v[8:9]
	v_mul_f64 v[22:23], v[34:35], 0.5
	v_fmac_f64_e32 v[22:23], v[18:19], v[16:17]
	v_lshlrev_b32_e32 v2, 30, v31
	v_fma_f64 v[8:9], v[8:9], v[22:23], -v[34:35]
	v_xor_b32_e32 v2, v2, v103
	v_fmac_f64_e32 v[8:9], s[34:35], v[18:19]
	v_and_b32_e32 v2, 0x80000000, v2
	v_add_f64 v[8:9], v[24:25], -v[8:9]
	v_and_b32_e32 v3, 1, v33
	v_xor_b32_e32 v1, v1, v2
	v_xor_b32_e32 v2, 0x80000000, v9
	v_cmp_eq_u32_e64 s[0:1], 0, v3
	v_lshlrev_b32_e32 v4, 30, v33
	v_cndmask_b32_e64 v2, v2, v11, s[0:1]
	v_and_b32_e32 v4, 0x80000000, v4
	v_cmp_class_f64_e64 vcc, v[102:103], s33
	v_cndmask_b32_e64 v3, v8, v10, s[0:1]
	v_xor_b32_e32 v2, v2, v4
	v_cndmask_b32_e32 v10, 0, v3, vcc
	v_cndmask_b32_e32 v11, v120, v2, vcc
	buffer_load_dword v2, off, s[96:99], 0 offset:24 ; 4-byte Folded Reload
	buffer_load_dword v3, off, s[96:99], 0 offset:28 ; 4-byte Folded Reload
	v_mul_f64 v[16:17], v[10:11], v[10:11]
	v_add_f64 v[18:19], v[118:119], v[118:119]
	v_mul_f64 v[16:17], v[6:7], v[16:17]
	v_fma_f64 v[22:23], v[118:119], v[118:119], -v[18:19]
	v_fmac_f64_e32 v[16:17], v[118:119], v[118:119]
	v_add_f64 v[22:23], v[6:7], v[22:23]
	v_mul_f64 v[24:25], v[22:23], v[16:17]
	v_div_scale_f64 v[32:33], s[2:3], v[24:25], v[24:25], 1.0
	v_rcp_f64_e32 v[34:35], v[32:33]
	v_cndmask_b32_e32 v0, 0, v0, vcc
	v_cndmask_b32_e32 v1, v120, v1, vcc
	v_mul_f64 v[22:23], v[22:23], -v[26:27]
	v_fma_f64 v[38:39], -v[32:33], v[34:35], 1.0
	v_fmac_f64_e32 v[34:35], v[34:35], v[38:39]
	v_fma_f64 v[38:39], -v[32:33], v[34:35], 1.0
	v_fmac_f64_e32 v[34:35], v[34:35], v[38:39]
	v_div_scale_f64 v[38:39], vcc, 1.0, v[24:25], 1.0
	v_mul_f64 v[40:41], v[38:39], v[34:35]
	v_fma_f64 v[32:33], -v[32:33], v[40:41], v[38:39]
	buffer_load_dword v44, off, s[96:99], 0 offset:184 ; 4-byte Folded Reload
	buffer_load_dword v45, off, s[96:99], 0 offset:188 ; 4-byte Folded Reload
	v_div_fmas_f64 v[32:33], v[32:33], v[34:35], v[40:41]
	v_div_fixup_f64 v[24:25], v[32:33], v[24:25], 1.0
	v_div_scale_f64 v[32:33], s[2:3], v[16:17], v[16:17], 1.0
	v_rcp_f64_e32 v[34:35], v[32:33]
	v_mul_f64 v[8:9], v[0:1], v[0:1]
	v_cmp_gt_f64_e64 s[0:1], s[90:91], v[0:1]
	v_cndmask_b32_e64 v9, v9, v121, s[0:1]
	v_fma_f64 v[38:39], -v[32:33], v[34:35], 1.0
	v_fmac_f64_e32 v[34:35], v[34:35], v[38:39]
	v_fma_f64 v[38:39], -v[32:33], v[34:35], 1.0
	v_fmac_f64_e32 v[34:35], v[34:35], v[38:39]
	v_div_scale_f64 v[38:39], vcc, 1.0, v[16:17], 1.0
	v_mul_f64 v[40:41], v[38:39], v[34:35]
	v_fma_f64 v[32:33], -v[32:33], v[40:41], v[38:39]
	v_cndmask_b32_e64 v8, v8, v111, s[0:1]
	s_nop 0
	v_div_fmas_f64 v[32:33], v[32:33], v[34:35], v[40:41]
	v_div_fixup_f64 v[32:33], v[32:33], v[16:17], 1.0
	v_mul_f64 v[4:5], v[22:23], v[32:33]
	buffer_store_dword v4, off, s[96:99], 0 offset:16 ; 4-byte Folded Spill
	s_nop 0
	buffer_store_dword v5, off, s[96:99], 0 offset:20 ; 4-byte Folded Spill
	v_fmac_f64_e32 v[16:17], -2.0, v[118:119]
	v_mul_f64 v[22:23], s[12:13], v[18:19]
	v_cndmask_b32_e64 v1, v1, v96, s[0:1]
	v_cndmask_b32_e64 v0, v0, v30, s[0:1]
	v_mul_f64 v[0:1], -v[0:1], v[10:11]
	v_mul_f64 v[12:13], v[32:33], -v[28:29]
	v_pk_mov_b32 v[100:101], v[102:103], v[102:103] op_sel:[0,1]
	s_mov_b64 s[8:9], 0
	s_waitcnt vmcnt(4)
	v_mul_f64 v[16:17], v[2:3], v[16:17]
	v_div_scale_f64 v[34:35], s[2:3], v[8:9], v[8:9], v[16:17]
	v_rcp_f64_e32 v[38:39], v[34:35]
	v_fma_f64 v[40:41], -v[34:35], v[38:39], 1.0
	v_fmac_f64_e32 v[38:39], v[38:39], v[40:41]
	v_fma_f64 v[40:41], -v[34:35], v[38:39], 1.0
	v_fmac_f64_e32 v[38:39], v[38:39], v[40:41]
	v_div_scale_f64 v[40:41], vcc, v[16:17], v[8:9], v[16:17]
	v_mul_f64 v[42:43], v[40:41], v[38:39]
	v_fma_f64 v[34:35], -v[34:35], v[42:43], v[40:41]
	s_nop 1
	v_div_fmas_f64 v[34:35], v[34:35], v[38:39], v[42:43]
	v_div_fixup_f64 v[16:17], v[34:35], v[8:9], v[16:17]
	v_fmac_f64_e32 v[16:17], s[12:13], v[18:19]
	v_mul_f64 v[34:35], v[24:25], -v[16:17]
	v_fma_f64 v[16:17], v[118:119], v[118:119], v[6:7]
	v_mul_f64 v[16:17], v[18:19], v[16:17]
	v_fma_f64 v[18:19], -v[2:3], v[22:23], v[16:17]
	v_add_f64 v[22:23], v[26:27], v[26:27]
	v_fma_f64 v[36:37], v[18:19], v[24:25], 1.0
	v_add_f64 v[18:19], v[118:119], -1.0
	v_mul_f64 v[22:23], v[26:27], v[22:23]
	v_fma_f64 v[16:17], -v[112:113], v[18:19], v[16:17]
	v_mul_f64 v[18:19], v[18:19], v[22:23]
	v_mul_f64 v[8:9], v[8:9], v[8:9]
	v_add_f64 v[16:17], v[16:17], -v[116:117]
	v_mul_f64 v[18:19], v[18:19], v[32:33]
	v_div_scale_f64 v[10:11], s[0:1], v[8:9], v[8:9], v[14:15]
	v_fma_f64 v[24:25], v[16:17], v[24:25], -v[18:19]
	v_rcp_f64_e32 v[16:17], v[10:11]
	s_mov_b32 s0, 0xd2f1a9fc
	s_mov_b32 s1, 0x3f50624d
	v_fma_f64 v[18:19], -v[10:11], v[16:17], 1.0
	v_fmac_f64_e32 v[16:17], v[16:17], v[18:19]
	v_fma_f64 v[18:19], -v[10:11], v[16:17], 1.0
	v_fmac_f64_e32 v[16:17], v[16:17], v[18:19]
	v_div_scale_f64 v[18:19], vcc, v[14:15], v[8:9], v[14:15]
	v_mul_f64 v[22:23], v[18:19], v[16:17]
	v_fma_f64 v[10:11], -v[10:11], v[22:23], v[18:19]
	s_nop 1
	v_div_fmas_f64 v[10:11], v[10:11], v[16:17], v[22:23]
	v_div_fixup_f64 v[8:9], v[10:11], v[8:9], v[14:15]
	v_add_f64 v[8:9], v[8:9], -v[6:7]
	v_mul_f64 v[0:1], v[8:9], v[0:1]
	v_mul_f64 v[8:9], v[0:1], v[32:33]
	s_waitcnt vmcnt(2)
	v_mul_f64 v[0:1], v[44:45], v[4:5]
	v_add_f64 v[0:1], |v[0:1]|, |v[118:119]|
	v_add_f64 v[0:1], v[0:1], s[0:1]
	buffer_store_dword v0, off, s[96:99], 0 offset:72 ; 4-byte Folded Spill
	s_nop 0
	buffer_store_dword v1, off, s[96:99], 0 offset:76 ; 4-byte Folded Spill
	buffer_store_dword v12, off, s[96:99], 0 offset:32 ; 4-byte Folded Spill
	s_nop 0
	buffer_store_dword v13, off, s[96:99], 0 offset:36 ; 4-byte Folded Spill
	v_mul_f64 v[0:1], v[44:45], v[12:13]
	v_add_f64 v[0:1], |v[0:1]|, |v[102:103]|
	v_add_f64 v[0:1], v[0:1], s[0:1]
	buffer_store_dword v0, off, s[96:99], 0 offset:80 ; 4-byte Folded Spill
	s_nop 0
	buffer_store_dword v1, off, s[96:99], 0 offset:84 ; 4-byte Folded Spill
	buffer_store_dword v34, off, s[96:99], 0 offset:40 ; 4-byte Folded Spill
	s_nop 0
	buffer_store_dword v35, off, s[96:99], 0 offset:44 ; 4-byte Folded Spill
	buffer_load_dword v2, off, s[96:99], 0 offset:192 ; 4-byte Folded Reload
	buffer_load_dword v3, off, s[96:99], 0 offset:196 ; 4-byte Folded Reload
	v_mul_f64 v[0:1], v[44:45], v[34:35]
	s_waitcnt vmcnt(0)
	v_add_f64 v[0:1], |v[0:1]|, |v[2:3]|
	v_add_f64 v[0:1], v[0:1], s[0:1]
	buffer_store_dword v0, off, s[96:99], 0 offset:88 ; 4-byte Folded Spill
	s_nop 0
	buffer_store_dword v1, off, s[96:99], 0 offset:92 ; 4-byte Folded Spill
	buffer_store_dword v36, off, s[96:99], 0 offset:48 ; 4-byte Folded Spill
	s_nop 0
	buffer_store_dword v37, off, s[96:99], 0 offset:52 ; 4-byte Folded Spill
	buffer_load_dword v2, off, s[96:99], 0 offset:200 ; 4-byte Folded Reload
	buffer_load_dword v3, off, s[96:99], 0 offset:204 ; 4-byte Folded Reload
	v_mul_f64 v[0:1], v[44:45], -v[36:37]
	s_waitcnt vmcnt(0)
	v_add_f64 v[0:1], |v[0:1]|, |v[2:3]|
	v_add_f64 v[0:1], v[0:1], s[0:1]
	buffer_store_dword v0, off, s[96:99], 0 offset:96 ; 4-byte Folded Spill
	s_nop 0
	buffer_store_dword v1, off, s[96:99], 0 offset:100 ; 4-byte Folded Spill
	buffer_store_dword v24, off, s[96:99], 0 offset:56 ; 4-byte Folded Spill
	s_nop 0
	buffer_store_dword v25, off, s[96:99], 0 offset:60 ; 4-byte Folded Spill
	v_mul_f64 v[0:1], v[44:45], -v[24:25]
	v_add_f64 v[0:1], |v[0:1]|, |v[26:27]|
	v_add_f64 v[0:1], v[0:1], s[0:1]
	buffer_store_dword v0, off, s[96:99], 0 offset:104 ; 4-byte Folded Spill
	s_nop 0
	buffer_store_dword v1, off, s[96:99], 0 offset:108 ; 4-byte Folded Spill
	buffer_store_dword v8, off, s[96:99], 0 offset:64 ; 4-byte Folded Spill
	s_nop 0
	buffer_store_dword v9, off, s[96:99], 0 offset:68 ; 4-byte Folded Spill
	v_mul_f64 v[0:1], v[44:45], v[8:9]
	v_add_f64 v[0:1], |v[0:1]|, |v[28:29]|
	v_add_f64 v[94:95], v[0:1], s[0:1]
	s_branch .LBB1_93
.LBB1_90:                               ;   in Loop: Header=BB1_93 Depth=3
	s_or_b64 exec, exec, s[4:5]
.LBB1_91:                               ;   in Loop: Header=BB1_93 Depth=3
	s_or_b64 exec, exec, s[2:3]
	s_xor_b64 s[2:3], exec, -1
.LBB1_92:                               ;   in Loop: Header=BB1_93 Depth=3
	s_or_b64 exec, exec, s[0:1]
	s_and_b64 s[0:1], exec, s[2:3]
	s_or_b64 s[8:9], s[0:1], s[8:9]
	s_andn2_b64 exec, exec, s[8:9]
	s_cbranch_execz .LBB1_141
.LBB1_93:                               ;   Parent Loop BB1_79 Depth=1
                                        ;     Parent Loop BB1_81 Depth=2
                                        ; =>    This Inner Loop Header: Depth=3
	buffer_load_dword v0, off, s[96:99], 0 offset:32 ; 4-byte Folded Reload
	buffer_load_dword v1, off, s[96:99], 0 offset:36 ; 4-byte Folded Reload
	v_pk_mov_b32 v[122:123], v[44:45], v[44:45] op_sel:[0,1]
                                        ; implicit-def: $vgpr32
                                        ; implicit-def: $vgpr38_vgpr39
                                        ; implicit-def: $vgpr42_vgpr43
	s_waitcnt vmcnt(0)
	v_mul_f64 v[114:115], v[0:1], v[122:123]
	v_fma_f64 v[8:9], s[84:85], v[114:115], v[100:101]
	v_cmp_nlt_f64_e64 s[2:3], |v[8:9]|, s[20:21]
	v_trig_preop_f64 v[16:17], |v[8:9]|, 0
	v_trig_preop_f64 v[10:11], |v[8:9]|, 1
	v_ldexp_f64 v[22:23], |v[8:9]|, s36
	v_trig_preop_f64 v[0:1], |v[8:9]|, 2
	v_and_b32_e32 v31, 0x7fffffff, v9
	s_and_saveexec_b64 s[0:1], s[2:3]
	s_xor_b64 s[10:11], exec, s[0:1]
	s_cbranch_execz .LBB1_95
; %bb.94:                               ;   in Loop: Header=BB1_93 Depth=3
	v_cmp_ge_f64_e64 vcc, |v[8:9]|, s[64:65]
	v_cndmask_b32_e32 v33, v31, v23, vcc
	v_cndmask_b32_e32 v32, v8, v22, vcc
	v_mul_f64 v[38:39], v[16:17], v[32:33]
	v_mul_f64 v[34:35], v[10:11], v[32:33]
	v_fma_f64 v[40:41], v[16:17], v[32:33], -v[38:39]
	v_add_f64 v[42:43], v[34:35], v[40:41]
	v_add_f64 v[44:45], v[38:39], v[42:43]
	v_ldexp_f64 v[46:47], v[44:45], -2
	v_fract_f64_e32 v[48:49], v[46:47]
	v_cmp_neq_f64_e64 vcc, |v[46:47]|, s[46:47]
	v_cndmask_b32_e32 v47, 0, v49, vcc
	v_cndmask_b32_e32 v46, 0, v48, vcc
	v_add_f64 v[48:49], v[42:43], -v[34:35]
	v_add_f64 v[40:41], v[40:41], -v[48:49]
	;; [unrolled: 1-line block ×4, first 2 shown]
	v_add_f64 v[40:41], v[40:41], v[48:49]
	v_fma_f64 v[34:35], v[10:11], v[32:33], -v[34:35]
	v_mul_f64 v[48:49], v[0:1], v[32:33]
	v_add_f64 v[50:51], v[48:49], v[34:35]
	v_add_f64 v[52:53], v[50:51], v[40:41]
	v_add_f64 v[38:39], v[44:45], -v[38:39]
	v_add_f64 v[44:45], v[52:53], -v[50:51]
	;; [unrolled: 1-line block ×5, first 2 shown]
	v_add_f64 v[40:41], v[40:41], v[44:45]
	v_add_f64 v[44:45], v[50:51], -v[48:49]
	v_add_f64 v[34:35], v[34:35], -v[44:45]
	;; [unrolled: 1-line block ×5, first 2 shown]
	v_add_f64 v[42:43], v[38:39], v[52:53]
	v_add_f64 v[34:35], v[34:35], v[44:45]
	v_add_f64 v[38:39], v[42:43], -v[38:39]
	v_add_f64 v[34:35], v[34:35], v[40:41]
	v_fma_f64 v[32:33], v[0:1], v[32:33], -v[48:49]
	v_add_f64 v[38:39], v[52:53], -v[38:39]
	v_add_f64 v[32:33], v[32:33], v[34:35]
	v_ldexp_f64 v[34:35], v[46:47], 2
	v_add_f64 v[32:33], v[38:39], v[32:33]
	v_add_f64 v[38:39], v[42:43], v[34:35]
	v_cmp_gt_f64_e32 vcc, 0, v[38:39]
	v_mov_b32_e32 v2, 0x40100000
	v_cndmask_b32_e32 v21, 0, v2, vcc
	v_add_f64 v[34:35], v[34:35], v[20:21]
	v_add_f64 v[38:39], v[42:43], v[34:35]
	v_cvt_i32_f64_e32 v2, v[38:39]
	v_cvt_f64_i32_e32 v[38:39], v2
	v_add_f64 v[34:35], v[34:35], -v[38:39]
	v_add_f64 v[38:39], v[42:43], v[34:35]
	v_add_f64 v[34:35], v[38:39], -v[34:35]
	v_cmp_le_f64_e32 vcc, 0.5, v[38:39]
	v_add_f64 v[34:35], v[42:43], -v[34:35]
	v_cndmask_b32_e32 v21, 0, v126, vcc
	v_add_f64 v[34:35], v[32:33], v[34:35]
	v_add_f64 v[38:39], v[38:39], -v[20:21]
	v_add_f64 v[40:41], v[38:39], v[34:35]
	s_mov_b32 s16, s14
	v_mul_f64 v[42:43], v[40:41], s[16:17]
	v_add_f64 v[38:39], v[40:41], -v[38:39]
	v_fma_f64 v[44:45], v[40:41], s[16:17], -v[42:43]
	s_mov_b32 s79, s77
	v_add_f64 v[34:35], v[34:35], -v[38:39]
	v_fmac_f64_e32 v[44:45], s[78:79], v[40:41]
	v_fmac_f64_e32 v[44:45], s[16:17], v[34:35]
	v_add_f64 v[38:39], v[42:43], v[44:45]
	v_add_f64 v[34:35], v[38:39], -v[42:43]
	v_addc_co_u32_e64 v32, s[0:1], 0, v2, vcc
	v_add_f64 v[42:43], v[44:45], -v[34:35]
	s_andn2_saveexec_b64 s[0:1], s[10:11]
	s_cbranch_execz .LBB1_97
	s_branch .LBB1_96
.LBB1_95:                               ;   in Loop: Header=BB1_93 Depth=3
	s_andn2_saveexec_b64 s[0:1], s[10:11]
	s_cbranch_execz .LBB1_97
.LBB1_96:                               ;   in Loop: Header=BB1_93 Depth=3
	v_mul_f64 v[32:33], |v[8:9]|, s[80:81]
	v_rndne_f64_e32 v[32:33], v[32:33]
	v_fma_f64 v[34:35], v[32:33], s[14:15], |v[8:9]|
	v_mul_f64 v[38:39], v[32:33], s[82:83]
	v_add_f64 v[44:45], v[34:35], v[38:39]
	v_fma_f64 v[40:41], s[82:83], v[32:33], v[34:35]
	s_mov_b32 s76, s82
	v_add_f64 v[34:35], v[34:35], -v[44:45]
	v_fma_f64 v[42:43], s[76:77], v[32:33], v[38:39]
	v_add_f64 v[34:35], v[34:35], v[38:39]
	v_add_f64 v[38:39], v[44:45], -v[40:41]
	v_add_f64 v[34:35], v[38:39], v[34:35]
	v_add_f64 v[34:35], v[34:35], -v[42:43]
	v_fmac_f64_e32 v[34:35], s[88:89], v[32:33]
	v_add_f64 v[38:39], v[40:41], v[34:35]
	v_add_f64 v[40:41], v[38:39], -v[40:41]
	v_add_f64 v[42:43], v[34:35], -v[40:41]
	v_cvt_i32_f64_e32 v32, v[32:33]
.LBB1_97:                               ;   in Loop: Header=BB1_93 Depth=3
	s_or_b64 exec, exec, s[0:1]
                                        ; implicit-def: $vgpr33
                                        ; implicit-def: $vgpr34_vgpr35
                                        ; implicit-def: $vgpr40_vgpr41
	s_and_saveexec_b64 s[0:1], s[2:3]
	s_xor_b64 s[2:3], exec, s[0:1]
	s_cbranch_execz .LBB1_99
; %bb.98:                               ;   in Loop: Header=BB1_93 Depth=3
	v_cmp_ge_f64_e64 vcc, |v[8:9]|, s[64:65]
	v_cndmask_b32_e32 v23, v31, v23, vcc
	v_cndmask_b32_e32 v22, v8, v22, vcc
	v_mul_f64 v[40:41], v[16:17], v[22:23]
	v_mul_f64 v[34:35], v[10:11], v[22:23]
	v_fma_f64 v[16:17], v[16:17], v[22:23], -v[40:41]
	v_add_f64 v[44:45], v[34:35], v[16:17]
	v_add_f64 v[46:47], v[40:41], v[44:45]
	v_ldexp_f64 v[48:49], v[46:47], -2
	v_fract_f64_e32 v[50:51], v[48:49]
	v_cmp_neq_f64_e64 vcc, |v[48:49]|, s[46:47]
	v_cndmask_b32_e32 v49, 0, v51, vcc
	v_cndmask_b32_e32 v48, 0, v50, vcc
	v_add_f64 v[50:51], v[44:45], -v[34:35]
	v_add_f64 v[16:17], v[16:17], -v[50:51]
	;; [unrolled: 1-line block ×4, first 2 shown]
	v_fma_f64 v[10:11], v[10:11], v[22:23], -v[34:35]
	v_mul_f64 v[34:35], v[0:1], v[22:23]
	v_add_f64 v[16:17], v[16:17], v[50:51]
	v_add_f64 v[50:51], v[34:35], v[10:11]
	;; [unrolled: 1-line block ×3, first 2 shown]
	v_add_f64 v[40:41], v[46:47], -v[40:41]
	v_add_f64 v[46:47], v[52:53], -v[50:51]
	;; [unrolled: 1-line block ×5, first 2 shown]
	v_add_f64 v[16:17], v[16:17], v[46:47]
	v_add_f64 v[46:47], v[50:51], -v[34:35]
	v_add_f64 v[10:11], v[10:11], -v[46:47]
	;; [unrolled: 1-line block ×4, first 2 shown]
	v_add_f64 v[10:11], v[10:11], v[46:47]
	v_add_f64 v[40:41], v[44:45], -v[40:41]
	v_add_f64 v[10:11], v[10:11], v[16:17]
	v_fma_f64 v[0:1], v[0:1], v[22:23], -v[34:35]
	v_add_f64 v[44:45], v[40:41], v[52:53]
	v_add_f64 v[0:1], v[0:1], v[10:11]
	v_ldexp_f64 v[10:11], v[48:49], 2
	v_add_f64 v[16:17], v[44:45], v[10:11]
	v_cmp_gt_f64_e32 vcc, 0, v[16:17]
	v_mov_b32_e32 v2, 0x40100000
	v_cndmask_b32_e32 v21, 0, v2, vcc
	v_add_f64 v[10:11], v[10:11], v[20:21]
	v_add_f64 v[16:17], v[44:45], v[10:11]
	v_cvt_i32_f64_e32 v2, v[16:17]
	v_cvt_f64_i32_e32 v[16:17], v2
	v_add_f64 v[10:11], v[10:11], -v[16:17]
	v_add_f64 v[40:41], v[44:45], -v[40:41]
	v_add_f64 v[16:17], v[44:45], v[10:11]
	v_add_f64 v[40:41], v[52:53], -v[40:41]
	v_add_f64 v[10:11], v[16:17], -v[10:11]
	v_cmp_le_f64_e32 vcc, 0.5, v[16:17]
	v_add_f64 v[0:1], v[40:41], v[0:1]
	v_add_f64 v[10:11], v[44:45], -v[10:11]
	v_cndmask_b32_e32 v21, 0, v126, vcc
	v_add_f64 v[0:1], v[0:1], v[10:11]
	v_add_f64 v[10:11], v[16:17], -v[20:21]
	v_add_f64 v[16:17], v[10:11], v[0:1]
	v_add_f64 v[10:11], v[16:17], -v[10:11]
	s_mov_b32 s16, s14
	v_add_f64 v[0:1], v[0:1], -v[10:11]
	v_mul_f64 v[10:11], v[16:17], s[16:17]
	v_fma_f64 v[22:23], v[16:17], s[16:17], -v[10:11]
	s_mov_b32 s79, s77
	v_fmac_f64_e32 v[22:23], s[78:79], v[16:17]
	v_fmac_f64_e32 v[22:23], s[16:17], v[0:1]
	v_add_f64 v[34:35], v[10:11], v[22:23]
	v_add_f64 v[0:1], v[34:35], -v[10:11]
	v_addc_co_u32_e64 v33, s[0:1], 0, v2, vcc
	v_add_f64 v[40:41], v[22:23], -v[0:1]
	s_andn2_saveexec_b64 s[0:1], s[2:3]
	s_cbranch_execnz .LBB1_100
	s_branch .LBB1_101
.LBB1_99:                               ;   in Loop: Header=BB1_93 Depth=3
	s_andn2_saveexec_b64 s[0:1], s[2:3]
	s_cbranch_execz .LBB1_101
.LBB1_100:                              ;   in Loop: Header=BB1_93 Depth=3
	v_mul_f64 v[0:1], |v[8:9]|, s[80:81]
	v_rndne_f64_e32 v[0:1], v[0:1]
	v_fma_f64 v[10:11], v[0:1], s[14:15], |v[8:9]|
	v_mul_f64 v[22:23], v[0:1], s[82:83]
	v_add_f64 v[40:41], v[10:11], v[22:23]
	v_fma_f64 v[16:17], s[82:83], v[0:1], v[10:11]
	s_mov_b32 s76, s82
	v_add_f64 v[10:11], v[10:11], -v[40:41]
	v_fma_f64 v[34:35], s[76:77], v[0:1], v[22:23]
	v_add_f64 v[10:11], v[10:11], v[22:23]
	v_add_f64 v[22:23], v[40:41], -v[16:17]
	v_add_f64 v[10:11], v[22:23], v[10:11]
	v_add_f64 v[10:11], v[10:11], -v[34:35]
	v_fmac_f64_e32 v[10:11], s[88:89], v[0:1]
	v_add_f64 v[34:35], v[16:17], v[10:11]
	v_add_f64 v[16:17], v[34:35], -v[16:17]
	v_add_f64 v[40:41], v[10:11], -v[16:17]
	v_cvt_i32_f64_e32 v33, v[0:1]
.LBB1_101:                              ;   in Loop: Header=BB1_93 Depth=3
	s_or_b64 exec, exec, s[0:1]
	buffer_load_dword v0, off, s[96:99], 0 offset:16 ; 4-byte Folded Reload
	buffer_load_dword v1, off, s[96:99], 0 offset:20 ; 4-byte Folded Reload
	;; [unrolled: 1-line block ×6, first 2 shown]
	v_and_b32_e32 v2, 1, v33
	v_cmp_eq_u32_e32 vcc, 0, v2
	v_lshlrev_b32_e32 v2, 30, v33
	v_and_b32_e32 v2, 0x80000000, v2
	v_cmp_class_f64_e64 s[0:1], v[8:9], s33
                                        ; implicit-def: $vgpr31
                                        ; implicit-def: $vgpr64_vgpr65
	s_waitcnt vmcnt(4)
	v_mul_f64 v[124:125], v[0:1], v[122:123]
	v_mul_f64 v[0:1], v[34:35], v[34:35]
	s_waitcnt vmcnt(2)
	v_fmac_f64_e32 v[46:47], s[22:23], v[0:1]
	s_waitcnt vmcnt(0)
	v_fmac_f64_e32 v[48:49], v[0:1], v[46:47]
	buffer_load_dword v46, off, s[96:99], 0 offset:144 ; 4-byte Folded Reload
	buffer_load_dword v47, off, s[96:99], 0 offset:148 ; 4-byte Folded Reload
	v_mul_f64 v[10:11], v[0:1], 0.5
	v_add_f64 v[22:23], -v[10:11], 1.0
	v_add_f64 v[44:45], -v[22:23], 1.0
	v_add_f64 v[10:11], v[44:45], -v[10:11]
	v_mul_f64 v[44:45], v[0:1], v[0:1]
	v_fma_f64 v[10:11], v[34:35], -v[40:41], v[10:11]
	v_fma_f64 v[16:17], s[84:85], v[124:125], v[118:119]
	v_mul_f64 v[58:59], v[16:17], v[16:17]
	s_waitcnt vmcnt(0)
	v_fmac_f64_e32 v[46:47], v[0:1], v[48:49]
	buffer_load_dword v48, off, s[96:99], 0 offset:152 ; 4-byte Folded Reload
	buffer_load_dword v49, off, s[96:99], 0 offset:156 ; 4-byte Folded Reload
	s_waitcnt vmcnt(0)
	v_fmac_f64_e32 v[48:49], v[0:1], v[46:47]
	buffer_load_dword v46, off, s[96:99], 0 offset:112 ; 4-byte Folded Reload
	buffer_load_dword v47, off, s[96:99], 0 offset:116 ; 4-byte Folded Reload
	s_waitcnt vmcnt(0)
	v_fmac_f64_e32 v[46:47], v[0:1], v[48:49]
	v_fmac_f64_e32 v[10:11], v[44:45], v[46:47]
	v_add_f64 v[10:11], v[22:23], v[10:11]
	buffer_load_dword v22, off, s[96:99], 0 offset:160 ; 4-byte Folded Reload
	buffer_load_dword v23, off, s[96:99], 0 offset:164 ; 4-byte Folded Reload
	;; [unrolled: 1-line block ×4, first 2 shown]
	v_mul_f64 v[46:47], v[40:41], 0.5
	s_waitcnt vmcnt(2)
	v_fmac_f64_e32 v[22:23], s[38:39], v[0:1]
	s_waitcnt vmcnt(0)
	v_fmac_f64_e32 v[44:45], v[0:1], v[22:23]
	buffer_load_dword v22, off, s[96:99], 0 offset:176 ; 4-byte Folded Reload
	buffer_load_dword v23, off, s[96:99], 0 offset:180 ; 4-byte Folded Reload
	s_waitcnt vmcnt(0)
	v_fmac_f64_e32 v[22:23], v[0:1], v[44:45]
	buffer_load_dword v44, off, s[96:99], 0 offset:120 ; 4-byte Folded Reload
	buffer_load_dword v45, off, s[96:99], 0 offset:124 ; 4-byte Folded Reload
	s_waitcnt vmcnt(0)
	v_fmac_f64_e32 v[44:45], v[0:1], v[22:23]
	v_mul_f64 v[22:23], v[34:35], -v[0:1]
	v_fmac_f64_e32 v[46:47], v[22:23], v[44:45]
	v_fma_f64 v[0:1], v[0:1], v[46:47], -v[40:41]
	v_fmac_f64_e32 v[0:1], s[34:35], v[22:23]
	v_add_f64 v[0:1], v[34:35], -v[0:1]
	v_xor_b32_e32 v1, 0x80000000, v1
	v_cndmask_b32_e32 v1, v1, v11, vcc
	v_xor_b32_e32 v1, v1, v2
	buffer_load_dword v2, off, s[96:99], 0 offset:64 ; 4-byte Folded Reload
	buffer_load_dword v3, off, s[96:99], 0 offset:68 ; 4-byte Folded Reload
	v_cndmask_b32_e32 v0, v0, v10, vcc
	v_cndmask_b32_e64 v46, 0, v0, s[0:1]
	v_cndmask_b32_e64 v47, v120, v1, s[0:1]
	v_mul_f64 v[0:1], v[46:47], v[46:47]
	v_fma_f64 v[62:63], v[6:7], v[0:1], v[58:59]
	v_div_scale_f64 v[0:1], s[2:3], v[62:63], v[62:63], 1.0
	v_rcp_f64_e32 v[10:11], v[0:1]
	v_fma_f64 v[22:23], s[92:93], v[114:115], v[100:101]
	v_fma_f64 v[44:45], -v[0:1], v[10:11], 1.0
	v_fmac_f64_e32 v[10:11], v[10:11], v[44:45]
	v_fma_f64 v[44:45], -v[0:1], v[10:11], 1.0
	v_fmac_f64_e32 v[10:11], v[10:11], v[44:45]
	v_div_scale_f64 v[44:45], vcc, 1.0, v[62:63], 1.0
	v_mul_f64 v[48:49], v[44:45], v[10:11]
	v_fma_f64 v[0:1], -v[0:1], v[48:49], v[44:45]
	s_waitcnt vmcnt(0)
	v_mul_f64 v[34:35], v[2:3], v[122:123]
	v_div_fmas_f64 v[0:1], v[0:1], v[10:11], v[48:49]
	v_fma_f64 v[40:41], s[84:85], v[34:35], v[28:29]
	v_div_fixup_f64 v[60:61], v[0:1], v[62:63], 1.0
	v_mul_f64 v[0:1], v[60:61], -v[40:41]
	v_mul_f64 v[10:11], v[122:123], v[0:1]
	v_fmac_f64_e32 v[22:23], s[62:63], v[10:11]
	v_cmp_nlt_f64_e64 s[10:11], |v[22:23]|, s[20:21]
	v_trig_preop_f64 v[48:49], |v[22:23]|, 0
	v_trig_preop_f64 v[44:45], |v[22:23]|, 1
	v_ldexp_f64 v[52:53], |v[22:23]|, s36
	v_trig_preop_f64 v[0:1], |v[22:23]|, 2
	v_and_b32_e32 v33, 0x7fffffff, v23
                                        ; implicit-def: $vgpr40_vgpr41
	s_and_saveexec_b64 s[2:3], s[10:11]
	s_xor_b64 s[4:5], exec, s[2:3]
	s_cbranch_execz .LBB1_103
; %bb.102:                              ;   in Loop: Header=BB1_93 Depth=3
	v_cmp_ge_f64_e64 vcc, |v[22:23]|, s[64:65]
	v_cndmask_b32_e32 v41, v33, v53, vcc
	v_cndmask_b32_e32 v40, v22, v52, vcc
	v_mul_f64 v[54:55], v[48:49], v[40:41]
	v_mul_f64 v[50:51], v[44:45], v[40:41]
	v_fma_f64 v[56:57], v[48:49], v[40:41], -v[54:55]
	v_add_f64 v[64:65], v[50:51], v[56:57]
	v_add_f64 v[66:67], v[54:55], v[64:65]
	v_ldexp_f64 v[68:69], v[66:67], -2
	v_fract_f64_e32 v[70:71], v[68:69]
	v_cmp_neq_f64_e64 vcc, |v[68:69]|, s[46:47]
	v_cndmask_b32_e32 v69, 0, v71, vcc
	v_cndmask_b32_e32 v68, 0, v70, vcc
	v_add_f64 v[70:71], v[64:65], -v[50:51]
	v_add_f64 v[56:57], v[56:57], -v[70:71]
	v_add_f64 v[70:71], v[64:65], -v[70:71]
	v_add_f64 v[70:71], v[50:51], -v[70:71]
	v_add_f64 v[56:57], v[56:57], v[70:71]
	v_fma_f64 v[50:51], v[44:45], v[40:41], -v[50:51]
	v_mul_f64 v[70:71], v[0:1], v[40:41]
	v_add_f64 v[72:73], v[70:71], v[50:51]
	v_add_f64 v[74:75], v[72:73], v[56:57]
	v_add_f64 v[54:55], v[66:67], -v[54:55]
	v_add_f64 v[66:67], v[74:75], -v[72:73]
	;; [unrolled: 1-line block ×5, first 2 shown]
	v_add_f64 v[56:57], v[56:57], v[66:67]
	v_add_f64 v[66:67], v[72:73], -v[70:71]
	v_add_f64 v[50:51], v[50:51], -v[66:67]
	;; [unrolled: 1-line block ×5, first 2 shown]
	v_add_f64 v[64:65], v[54:55], v[74:75]
	v_add_f64 v[50:51], v[50:51], v[66:67]
	v_add_f64 v[54:55], v[64:65], -v[54:55]
	v_add_f64 v[50:51], v[50:51], v[56:57]
	v_fma_f64 v[40:41], v[0:1], v[40:41], -v[70:71]
	v_add_f64 v[54:55], v[74:75], -v[54:55]
	v_add_f64 v[40:41], v[40:41], v[50:51]
	v_ldexp_f64 v[50:51], v[68:69], 2
	v_add_f64 v[40:41], v[54:55], v[40:41]
	v_add_f64 v[54:55], v[64:65], v[50:51]
	v_cmp_gt_f64_e32 vcc, 0, v[54:55]
	v_mov_b32_e32 v2, 0x40100000
	v_cndmask_b32_e32 v21, 0, v2, vcc
	v_add_f64 v[50:51], v[50:51], v[20:21]
	v_add_f64 v[54:55], v[64:65], v[50:51]
	v_cvt_i32_f64_e32 v2, v[54:55]
	v_cvt_f64_i32_e32 v[54:55], v2
	v_add_f64 v[50:51], v[50:51], -v[54:55]
	v_add_f64 v[54:55], v[64:65], v[50:51]
	v_add_f64 v[50:51], v[54:55], -v[50:51]
	v_cmp_le_f64_e32 vcc, 0.5, v[54:55]
	v_add_f64 v[50:51], v[64:65], -v[50:51]
	v_cndmask_b32_e32 v21, 0, v126, vcc
	v_add_f64 v[40:41], v[40:41], v[50:51]
	v_add_f64 v[50:51], v[54:55], -v[20:21]
	v_add_f64 v[54:55], v[50:51], v[40:41]
	v_add_f64 v[50:51], v[54:55], -v[50:51]
	s_mov_b32 s16, s14
	v_add_f64 v[40:41], v[40:41], -v[50:51]
	v_mul_f64 v[50:51], v[54:55], s[16:17]
	v_fma_f64 v[56:57], v[54:55], s[16:17], -v[50:51]
	s_mov_b32 s79, s77
	v_fmac_f64_e32 v[56:57], s[78:79], v[54:55]
	v_fmac_f64_e32 v[56:57], s[16:17], v[40:41]
	v_add_f64 v[40:41], v[50:51], v[56:57]
	v_add_f64 v[50:51], v[40:41], -v[50:51]
	v_addc_co_u32_e64 v31, s[2:3], 0, v2, vcc
	v_add_f64 v[64:65], v[56:57], -v[50:51]
	s_andn2_saveexec_b64 s[2:3], s[4:5]
	s_cbranch_execz .LBB1_105
	s_branch .LBB1_104
.LBB1_103:                              ;   in Loop: Header=BB1_93 Depth=3
	s_andn2_saveexec_b64 s[2:3], s[4:5]
	s_cbranch_execz .LBB1_105
.LBB1_104:                              ;   in Loop: Header=BB1_93 Depth=3
	v_mul_f64 v[40:41], |v[22:23]|, s[80:81]
	v_rndne_f64_e32 v[50:51], v[40:41]
	v_fma_f64 v[40:41], v[50:51], s[14:15], |v[22:23]|
	v_mul_f64 v[56:57], v[50:51], s[82:83]
	v_add_f64 v[66:67], v[40:41], v[56:57]
	v_fma_f64 v[54:55], s[82:83], v[50:51], v[40:41]
	s_mov_b32 s76, s82
	v_add_f64 v[40:41], v[40:41], -v[66:67]
	v_fma_f64 v[64:65], s[76:77], v[50:51], v[56:57]
	v_add_f64 v[40:41], v[40:41], v[56:57]
	v_add_f64 v[56:57], v[66:67], -v[54:55]
	v_add_f64 v[40:41], v[56:57], v[40:41]
	v_add_f64 v[56:57], v[40:41], -v[64:65]
	v_fmac_f64_e32 v[56:57], s[88:89], v[50:51]
	v_add_f64 v[40:41], v[54:55], v[56:57]
	v_add_f64 v[54:55], v[40:41], -v[54:55]
	v_add_f64 v[64:65], v[56:57], -v[54:55]
	v_cvt_i32_f64_e32 v31, v[50:51]
.LBB1_105:                              ;   in Loop: Header=BB1_93 Depth=3
	s_or_b64 exec, exec, s[2:3]
                                        ; implicit-def: $vgpr8
                                        ; implicit-def: $vgpr50_vgpr51
                                        ; implicit-def: $vgpr54_vgpr55
	s_and_saveexec_b64 s[2:3], s[10:11]
	s_xor_b64 s[4:5], exec, s[2:3]
	s_cbranch_execz .LBB1_107
; %bb.106:                              ;   in Loop: Header=BB1_93 Depth=3
	v_cmp_ge_f64_e64 vcc, |v[22:23]|, s[64:65]
	v_cndmask_b32_e32 v51, v33, v53, vcc
	v_cndmask_b32_e32 v50, v22, v52, vcc
	v_mul_f64 v[54:55], v[48:49], v[50:51]
	v_mul_f64 v[52:53], v[44:45], v[50:51]
	v_fma_f64 v[48:49], v[48:49], v[50:51], -v[54:55]
	v_add_f64 v[56:57], v[52:53], v[48:49]
	v_add_f64 v[66:67], v[54:55], v[56:57]
	v_ldexp_f64 v[68:69], v[66:67], -2
	v_fract_f64_e32 v[70:71], v[68:69]
	v_cmp_neq_f64_e64 vcc, |v[68:69]|, s[46:47]
	v_cndmask_b32_e32 v69, 0, v71, vcc
	v_cndmask_b32_e32 v68, 0, v70, vcc
	v_add_f64 v[70:71], v[56:57], -v[52:53]
	v_add_f64 v[48:49], v[48:49], -v[70:71]
	v_add_f64 v[70:71], v[56:57], -v[70:71]
	v_add_f64 v[70:71], v[52:53], -v[70:71]
	v_fma_f64 v[44:45], v[44:45], v[50:51], -v[52:53]
	v_mul_f64 v[52:53], v[0:1], v[50:51]
	v_add_f64 v[48:49], v[48:49], v[70:71]
	v_add_f64 v[70:71], v[52:53], v[44:45]
	;; [unrolled: 1-line block ×3, first 2 shown]
	v_add_f64 v[54:55], v[66:67], -v[54:55]
	v_add_f64 v[66:67], v[72:73], -v[70:71]
	;; [unrolled: 1-line block ×5, first 2 shown]
	v_add_f64 v[48:49], v[48:49], v[66:67]
	v_add_f64 v[66:67], v[70:71], -v[52:53]
	v_add_f64 v[44:45], v[44:45], -v[66:67]
	;; [unrolled: 1-line block ×4, first 2 shown]
	v_add_f64 v[44:45], v[44:45], v[66:67]
	v_add_f64 v[54:55], v[56:57], -v[54:55]
	v_add_f64 v[44:45], v[44:45], v[48:49]
	v_fma_f64 v[0:1], v[0:1], v[50:51], -v[52:53]
	v_add_f64 v[56:57], v[54:55], v[72:73]
	v_add_f64 v[0:1], v[0:1], v[44:45]
	v_ldexp_f64 v[44:45], v[68:69], 2
	v_add_f64 v[48:49], v[56:57], v[44:45]
	v_cmp_gt_f64_e32 vcc, 0, v[48:49]
	v_mov_b32_e32 v2, 0x40100000
	v_cndmask_b32_e32 v21, 0, v2, vcc
	v_add_f64 v[44:45], v[44:45], v[20:21]
	v_add_f64 v[48:49], v[56:57], v[44:45]
	v_cvt_i32_f64_e32 v2, v[48:49]
	v_cvt_f64_i32_e32 v[48:49], v2
	v_add_f64 v[44:45], v[44:45], -v[48:49]
	v_add_f64 v[54:55], v[56:57], -v[54:55]
	v_add_f64 v[48:49], v[56:57], v[44:45]
	v_add_f64 v[54:55], v[72:73], -v[54:55]
	v_add_f64 v[44:45], v[48:49], -v[44:45]
	v_cmp_le_f64_e32 vcc, 0.5, v[48:49]
	v_add_f64 v[0:1], v[54:55], v[0:1]
	v_add_f64 v[44:45], v[56:57], -v[44:45]
	v_cndmask_b32_e32 v21, 0, v126, vcc
	v_add_f64 v[0:1], v[0:1], v[44:45]
	v_add_f64 v[44:45], v[48:49], -v[20:21]
	v_add_f64 v[48:49], v[44:45], v[0:1]
	v_add_f64 v[44:45], v[48:49], -v[44:45]
	s_mov_b32 s16, s14
	v_add_f64 v[0:1], v[0:1], -v[44:45]
	v_mul_f64 v[44:45], v[48:49], s[16:17]
	v_fma_f64 v[52:53], v[48:49], s[16:17], -v[44:45]
	s_mov_b32 s79, s77
	v_fmac_f64_e32 v[52:53], s[78:79], v[48:49]
	v_fmac_f64_e32 v[52:53], s[16:17], v[0:1]
	v_add_f64 v[50:51], v[44:45], v[52:53]
	v_add_f64 v[0:1], v[50:51], -v[44:45]
	v_addc_co_u32_e64 v8, s[2:3], 0, v2, vcc
	v_add_f64 v[54:55], v[52:53], -v[0:1]
	s_andn2_saveexec_b64 s[2:3], s[4:5]
	s_cbranch_execnz .LBB1_108
	s_branch .LBB1_109
.LBB1_107:                              ;   in Loop: Header=BB1_93 Depth=3
	s_andn2_saveexec_b64 s[2:3], s[4:5]
	s_cbranch_execz .LBB1_109
.LBB1_108:                              ;   in Loop: Header=BB1_93 Depth=3
	v_mul_f64 v[0:1], |v[22:23]|, s[80:81]
	v_rndne_f64_e32 v[0:1], v[0:1]
	v_fma_f64 v[44:45], v[0:1], s[14:15], |v[22:23]|
	v_mul_f64 v[50:51], v[0:1], s[82:83]
	v_add_f64 v[54:55], v[44:45], v[50:51]
	v_fma_f64 v[48:49], s[82:83], v[0:1], v[44:45]
	s_mov_b32 s76, s82
	v_add_f64 v[44:45], v[44:45], -v[54:55]
	v_fma_f64 v[52:53], s[76:77], v[0:1], v[50:51]
	v_add_f64 v[44:45], v[44:45], v[50:51]
	v_add_f64 v[50:51], v[54:55], -v[48:49]
	v_add_f64 v[44:45], v[50:51], v[44:45]
	v_add_f64 v[44:45], v[44:45], -v[52:53]
	v_fmac_f64_e32 v[44:45], s[88:89], v[0:1]
	v_add_f64 v[50:51], v[48:49], v[44:45]
	v_add_f64 v[48:49], v[50:51], -v[48:49]
	v_add_f64 v[54:55], v[44:45], -v[48:49]
	v_cvt_i32_f64_e32 v8, v[0:1]
.LBB1_109:                              ;   in Loop: Header=BB1_93 Depth=3
	s_or_b64 exec, exec, s[2:3]
	buffer_load_dword v0, off, s[96:99], 0 offset:56 ; 4-byte Folded Reload
	buffer_load_dword v1, off, s[96:99], 0 offset:60 ; 4-byte Folded Reload
	s_mov_b32 s2, 0xb42fdfa7
	s_mov_b32 s3, 0xbe5ae600
	v_mul_f64 v[48:49], v[38:39], v[38:39]
	v_pk_mov_b32 v[56:57], s[2:3], s[2:3] op_sel:[0,1]
	v_fma_f64 v[68:69], s[38:39], v[48:49], v[56:57]
	v_fma_f64 v[68:69], v[48:49], v[68:69], s[40:41]
	;; [unrolled: 1-line block ×3, first 2 shown]
	s_mov_b32 s2, 0x9037ab78
	v_mul_f64 v[66:67], v[38:39], -v[48:49]
	v_fma_f64 v[68:69], v[48:49], v[68:69], s[44:45]
	v_mul_f64 v[70:71], v[42:43], 0.5
	s_mov_b32 s3, 0x3e21eeb6
	v_fmac_f64_e32 v[70:71], v[66:67], v[68:69]
	v_pk_mov_b32 v[78:79], s[2:3], s[2:3] op_sel:[0,1]
	v_fma_f64 v[68:69], v[48:49], v[70:71], -v[42:43]
	v_fma_f64 v[80:81], s[22:23], v[48:49], v[78:79]
	v_fmac_f64_e32 v[68:69], s[34:35], v[66:67]
	v_fma_f64 v[80:81], v[48:49], v[80:81], s[24:25]
	v_add_f64 v[66:67], v[38:39], -v[68:69]
	v_mul_f64 v[68:69], v[48:49], 0.5
	v_fma_f64 v[80:81], v[48:49], v[80:81], s[26:27]
	v_add_f64 v[70:71], -v[68:69], 1.0
	v_fma_f64 v[80:81], v[48:49], v[80:81], s[28:29]
	v_mul_f64 v[72:73], v[48:49], v[48:49]
	v_fma_f64 v[48:49], v[48:49], v[80:81], s[30:31]
	v_add_f64 v[80:81], -v[70:71], 1.0
	v_add_f64 v[68:69], v[80:81], -v[68:69]
	v_fma_f64 v[38:39], v[38:39], -v[42:43], v[68:69]
	v_and_b32_e32 v2, 1, v32
	v_fmac_f64_e32 v[38:39], v[72:73], v[48:49]
	v_lshlrev_b32_e32 v4, 30, v32
	v_cmp_eq_u32_e32 vcc, 0, v2
	v_add_f64 v[38:39], v[70:71], v[38:39]
	v_xor_b32_e32 v4, v4, v9
	v_cndmask_b32_e32 v3, v39, v67, vcc
	v_and_b32_e32 v4, 0x80000000, v4
	v_cndmask_b32_e32 v2, v38, v66, vcc
	v_xor_b32_e32 v3, v3, v4
	v_cndmask_b32_e64 v32, 0, v2, s[0:1]
	v_cndmask_b32_e64 v33, v120, v3, s[0:1]
	v_mul_f64 v[38:39], v[32:33], v[32:33]
	v_cmp_gt_f64_e32 vcc, s[90:91], v[32:33]
	v_cndmask_b32_e32 v39, v39, v121, vcc
	v_cndmask_b32_e32 v38, v38, v111, vcc
	;; [unrolled: 1-line block ×4, first 2 shown]
	v_mul_f64 v[38:39], v[38:39], v[38:39]
	v_mul_f64 v[32:33], -v[32:33], v[46:47]
	v_div_scale_f64 v[46:47], s[0:1], v[38:39], v[38:39], v[14:15]
	v_rcp_f64_e32 v[66:67], v[46:47]
	v_fma_f64 v[42:43], -2.0, v[16:17], v[58:59]
	v_add_f64 v[48:49], v[6:7], v[42:43]
	v_and_b32_e32 v3, 1, v8
	v_fma_f64 v[68:69], -v[46:47], v[66:67], 1.0
	v_fmac_f64_e32 v[66:67], v[66:67], v[68:69]
	v_fma_f64 v[68:69], -v[46:47], v[66:67], 1.0
	v_fmac_f64_e32 v[66:67], v[66:67], v[68:69]
	v_div_scale_f64 v[68:69], vcc, v[14:15], v[38:39], v[14:15]
	v_mul_f64 v[70:71], v[68:69], v[66:67]
	v_fma_f64 v[46:47], -v[46:47], v[70:71], v[68:69]
	v_lshlrev_b32_e32 v4, 30, v8
	s_nop 0
	v_div_fmas_f64 v[46:47], v[46:47], v[66:67], v[70:71]
	v_div_fixup_f64 v[38:39], v[46:47], v[38:39], v[14:15]
	v_add_f64 v[38:39], v[38:39], -v[6:7]
	v_mul_f64 v[32:33], v[38:39], v[32:33]
	v_mul_f64 v[32:33], v[32:33], v[60:61]
	;; [unrolled: 1-line block ×4, first 2 shown]
	v_mul_f64 v[38:39], v[32:33], 0.5
	v_fma_f64 v[66:67], s[22:23], v[32:33], v[78:79]
	v_fma_f64 v[66:67], v[32:33], v[66:67], s[24:25]
	;; [unrolled: 1-line block ×5, first 2 shown]
	v_cmp_eq_u32_e32 vcc, 0, v3
	v_and_b32_e32 v4, 0x80000000, v4
	v_fma_f64 v[76:77], s[92:93], v[124:125], v[118:119]
	s_waitcnt vmcnt(0)
	v_mul_f64 v[0:1], v[122:123], -v[0:1]
	v_fma_f64 v[44:45], s[84:85], v[0:1], v[26:27]
	v_mul_f64 v[42:43], v[48:49], -v[44:45]
	v_mul_f64 v[42:43], v[42:43], v[60:61]
	v_mul_f64 v[102:103], v[122:123], v[42:43]
	v_add_f64 v[42:43], -v[38:39], 1.0
	v_add_f64 v[46:47], -v[42:43], 1.0
	v_add_f64 v[38:39], v[46:47], -v[38:39]
	v_mul_f64 v[46:47], v[32:33], v[32:33]
	v_fma_f64 v[38:39], v[50:51], -v[54:55], v[38:39]
	v_fmac_f64_e32 v[38:39], v[46:47], v[66:67]
	v_add_f64 v[38:39], v[42:43], v[38:39]
	v_fma_f64 v[42:43], s[38:39], v[32:33], v[56:57]
	v_fma_f64 v[42:43], v[32:33], v[42:43], s[40:41]
	;; [unrolled: 1-line block ×4, first 2 shown]
	v_mul_f64 v[46:47], v[50:51], -v[32:33]
	v_mul_f64 v[56:57], v[54:55], 0.5
	v_fmac_f64_e32 v[56:57], v[46:47], v[42:43]
	v_fma_f64 v[32:33], v[32:33], v[56:57], -v[54:55]
	v_fmac_f64_e32 v[32:33], s[34:35], v[46:47]
	v_add_f64 v[32:33], v[50:51], -v[32:33]
	v_xor_b32_e32 v2, 0x80000000, v33
	v_cndmask_b32_e32 v2, v2, v39, vcc
	v_cmp_class_f64_e64 s[0:1], v[22:23], s33
	v_cndmask_b32_e32 v3, v32, v38, vcc
	v_xor_b32_e32 v2, v2, v4
	v_fmac_f64_e32 v[76:77], s[62:63], v[102:103]
	v_cndmask_b32_e64 v46, 0, v3, s[0:1]
	v_cndmask_b32_e64 v47, v120, v2, s[0:1]
	v_mul_f64 v[70:71], v[76:77], v[76:77]
	v_mul_f64 v[8:9], v[46:47], v[46:47]
	v_fma_f64 v[80:81], v[6:7], v[8:9], v[70:71]
	v_div_scale_f64 v[8:9], s[2:3], v[80:81], v[80:81], 1.0
	v_rcp_f64_e32 v[32:33], v[8:9]
	v_fma_f64 v[52:53], s[92:93], v[34:35], v[28:29]
	s_mov_b32 s86, s92
	v_fmac_f64_e32 v[52:53], s[62:63], v[106:107]
	v_fma_f64 v[38:39], -v[8:9], v[32:33], 1.0
	v_fmac_f64_e32 v[32:33], v[32:33], v[38:39]
	v_fma_f64 v[38:39], -v[8:9], v[32:33], 1.0
	v_fmac_f64_e32 v[32:33], v[32:33], v[38:39]
	v_div_scale_f64 v[38:39], vcc, 1.0, v[80:81], 1.0
	v_mul_f64 v[42:43], v[38:39], v[32:33]
	v_fma_f64 v[8:9], -v[8:9], v[42:43], v[38:39]
	v_fma_f64 v[74:75], s[86:87], v[114:115], v[100:101]
	s_nop 0
	v_div_fmas_f64 v[8:9], v[8:9], v[32:33], v[42:43]
	v_div_fixup_f64 v[72:73], v[8:9], v[80:81], 1.0
	s_mov_b32 s72, s62
	v_mul_f64 v[8:9], v[72:73], -v[52:53]
	v_fmac_f64_e32 v[74:75], s[72:73], v[10:11]
	v_mul_f64 v[98:99], v[122:123], v[8:9]
	s_mov_b32 s52, s92
	v_fmac_f64_e32 v[74:75], s[52:53], v[98:99]
	v_cmp_nlt_f64_e64 s[10:11], |v[74:75]|, s[20:21]
	v_trig_preop_f64 v[56:57], |v[74:75]|, 0
	v_trig_preop_f64 v[52:53], |v[74:75]|, 1
	v_ldexp_f64 v[66:67], |v[74:75]|, s36
	v_trig_preop_f64 v[42:43], |v[74:75]|, 2
	v_and_b32_e32 v22, 0x7fffffff, v75
                                        ; implicit-def: $vgpr110
                                        ; implicit-def: $vgpr8_vgpr9
                                        ; implicit-def: $vgpr38_vgpr39
	s_and_saveexec_b64 s[2:3], s[10:11]
	s_xor_b64 s[4:5], exec, s[2:3]
	s_cbranch_execz .LBB1_111
; %bb.110:                              ;   in Loop: Header=BB1_93 Depth=3
	v_cmp_ge_f64_e64 vcc, |v[74:75]|, s[64:65]
	v_cndmask_b32_e32 v9, v22, v67, vcc
	v_cndmask_b32_e32 v8, v74, v66, vcc
	v_mul_f64 v[38:39], v[56:57], v[8:9]
	v_mul_f64 v[32:33], v[52:53], v[8:9]
	v_fma_f64 v[50:51], v[56:57], v[8:9], -v[38:39]
	v_add_f64 v[54:55], v[32:33], v[50:51]
	v_add_f64 v[68:69], v[38:39], v[54:55]
	v_ldexp_f64 v[78:79], v[68:69], -2
	v_fract_f64_e32 v[82:83], v[78:79]
	v_cmp_neq_f64_e64 vcc, |v[78:79]|, s[46:47]
	v_cndmask_b32_e32 v79, 0, v83, vcc
	v_cndmask_b32_e32 v78, 0, v82, vcc
	v_add_f64 v[82:83], v[54:55], -v[32:33]
	v_add_f64 v[50:51], v[50:51], -v[82:83]
	;; [unrolled: 1-line block ×4, first 2 shown]
	v_add_f64 v[50:51], v[50:51], v[82:83]
	v_fma_f64 v[32:33], v[52:53], v[8:9], -v[32:33]
	v_mul_f64 v[82:83], v[42:43], v[8:9]
	v_add_f64 v[84:85], v[82:83], v[32:33]
	v_add_f64 v[86:87], v[84:85], v[50:51]
	v_add_f64 v[38:39], v[68:69], -v[38:39]
	v_add_f64 v[68:69], v[86:87], -v[84:85]
	;; [unrolled: 1-line block ×5, first 2 shown]
	v_add_f64 v[50:51], v[50:51], v[68:69]
	v_add_f64 v[68:69], v[84:85], -v[82:83]
	v_add_f64 v[32:33], v[32:33], -v[68:69]
	;; [unrolled: 1-line block ×5, first 2 shown]
	v_add_f64 v[54:55], v[38:39], v[86:87]
	v_add_f64 v[32:33], v[32:33], v[68:69]
	v_add_f64 v[38:39], v[54:55], -v[38:39]
	v_add_f64 v[32:33], v[32:33], v[50:51]
	v_fma_f64 v[8:9], v[42:43], v[8:9], -v[82:83]
	v_add_f64 v[38:39], v[86:87], -v[38:39]
	v_add_f64 v[8:9], v[8:9], v[32:33]
	v_ldexp_f64 v[32:33], v[78:79], 2
	v_add_f64 v[8:9], v[38:39], v[8:9]
	v_add_f64 v[38:39], v[54:55], v[32:33]
	v_cmp_gt_f64_e32 vcc, 0, v[38:39]
	v_mov_b32_e32 v2, 0x40100000
	v_cndmask_b32_e32 v21, 0, v2, vcc
	v_add_f64 v[32:33], v[32:33], v[20:21]
	v_add_f64 v[38:39], v[54:55], v[32:33]
	v_cvt_i32_f64_e32 v2, v[38:39]
	v_cvt_f64_i32_e32 v[38:39], v2
	v_add_f64 v[32:33], v[32:33], -v[38:39]
	v_add_f64 v[38:39], v[54:55], v[32:33]
	v_add_f64 v[32:33], v[38:39], -v[32:33]
	v_cmp_le_f64_e32 vcc, 0.5, v[38:39]
	v_add_f64 v[32:33], v[54:55], -v[32:33]
	v_cndmask_b32_e32 v21, 0, v126, vcc
	v_add_f64 v[8:9], v[8:9], v[32:33]
	v_add_f64 v[32:33], v[38:39], -v[20:21]
	v_add_f64 v[38:39], v[32:33], v[8:9]
	v_add_f64 v[32:33], v[38:39], -v[32:33]
	s_mov_b32 s16, s14
	v_add_f64 v[8:9], v[8:9], -v[32:33]
	v_mul_f64 v[32:33], v[38:39], s[16:17]
	v_fma_f64 v[50:51], v[38:39], s[16:17], -v[32:33]
	s_mov_b32 s79, s77
	v_fmac_f64_e32 v[50:51], s[78:79], v[38:39]
	v_fmac_f64_e32 v[50:51], s[16:17], v[8:9]
	v_add_f64 v[8:9], v[32:33], v[50:51]
	v_add_f64 v[32:33], v[8:9], -v[32:33]
	v_addc_co_u32_e64 v110, s[2:3], 0, v2, vcc
	v_add_f64 v[38:39], v[50:51], -v[32:33]
	s_andn2_saveexec_b64 s[2:3], s[4:5]
	s_cbranch_execz .LBB1_113
	s_branch .LBB1_112
.LBB1_111:                              ;   in Loop: Header=BB1_93 Depth=3
	s_andn2_saveexec_b64 s[2:3], s[4:5]
	s_cbranch_execz .LBB1_113
.LBB1_112:                              ;   in Loop: Header=BB1_93 Depth=3
	v_mul_f64 v[8:9], |v[74:75]|, s[80:81]
	v_rndne_f64_e32 v[32:33], v[8:9]
	v_fma_f64 v[8:9], v[32:33], s[14:15], |v[74:75]|
	v_mul_f64 v[50:51], v[32:33], s[82:83]
	v_add_f64 v[68:69], v[8:9], v[50:51]
	v_fma_f64 v[38:39], s[82:83], v[32:33], v[8:9]
	s_mov_b32 s76, s82
	v_add_f64 v[8:9], v[8:9], -v[68:69]
	v_fma_f64 v[54:55], s[76:77], v[32:33], v[50:51]
	v_add_f64 v[8:9], v[8:9], v[50:51]
	v_add_f64 v[50:51], v[68:69], -v[38:39]
	v_add_f64 v[8:9], v[50:51], v[8:9]
	v_add_f64 v[50:51], v[8:9], -v[54:55]
	v_fmac_f64_e32 v[50:51], s[88:89], v[32:33]
	v_add_f64 v[8:9], v[38:39], v[50:51]
	v_add_f64 v[38:39], v[8:9], -v[38:39]
	v_add_f64 v[38:39], v[50:51], -v[38:39]
	v_cvt_i32_f64_e32 v110, v[32:33]
.LBB1_113:                              ;   in Loop: Header=BB1_93 Depth=3
	s_or_b64 exec, exec, s[2:3]
                                        ; implicit-def: $vgpr32
                                        ; implicit-def: $vgpr50_vgpr51
                                        ; implicit-def: $vgpr54_vgpr55
	s_and_saveexec_b64 s[2:3], s[10:11]
	s_xor_b64 s[4:5], exec, s[2:3]
	s_cbranch_execz .LBB1_115
; %bb.114:                              ;   in Loop: Header=BB1_93 Depth=3
	v_cmp_ge_f64_e64 vcc, |v[74:75]|, s[64:65]
	v_cndmask_b32_e32 v33, v22, v67, vcc
	v_cndmask_b32_e32 v32, v74, v66, vcc
	v_mul_f64 v[54:55], v[56:57], v[32:33]
	v_mul_f64 v[50:51], v[52:53], v[32:33]
	v_fma_f64 v[56:57], v[56:57], v[32:33], -v[54:55]
	v_add_f64 v[66:67], v[50:51], v[56:57]
	v_add_f64 v[68:69], v[54:55], v[66:67]
	v_ldexp_f64 v[78:79], v[68:69], -2
	v_fract_f64_e32 v[82:83], v[78:79]
	v_cmp_neq_f64_e64 vcc, |v[78:79]|, s[46:47]
	v_cndmask_b32_e32 v79, 0, v83, vcc
	v_cndmask_b32_e32 v78, 0, v82, vcc
	v_add_f64 v[82:83], v[66:67], -v[50:51]
	v_add_f64 v[56:57], v[56:57], -v[82:83]
	;; [unrolled: 1-line block ×4, first 2 shown]
	v_fma_f64 v[50:51], v[52:53], v[32:33], -v[50:51]
	v_mul_f64 v[52:53], v[42:43], v[32:33]
	v_add_f64 v[56:57], v[56:57], v[82:83]
	v_add_f64 v[82:83], v[52:53], v[50:51]
	;; [unrolled: 1-line block ×3, first 2 shown]
	v_add_f64 v[54:55], v[68:69], -v[54:55]
	v_add_f64 v[68:69], v[84:85], -v[82:83]
	;; [unrolled: 1-line block ×5, first 2 shown]
	v_add_f64 v[56:57], v[56:57], v[68:69]
	v_add_f64 v[68:69], v[82:83], -v[52:53]
	v_add_f64 v[50:51], v[50:51], -v[68:69]
	;; [unrolled: 1-line block ×5, first 2 shown]
	v_add_f64 v[50:51], v[50:51], v[68:69]
	v_add_f64 v[66:67], v[54:55], v[84:85]
	;; [unrolled: 1-line block ×3, first 2 shown]
	v_fma_f64 v[32:33], v[42:43], v[32:33], -v[52:53]
	v_ldexp_f64 v[42:43], v[78:79], 2
	v_add_f64 v[32:33], v[32:33], v[50:51]
	v_add_f64 v[50:51], v[66:67], v[42:43]
	v_cmp_gt_f64_e32 vcc, 0, v[50:51]
	v_mov_b32_e32 v2, 0x40100000
	v_cndmask_b32_e32 v21, 0, v2, vcc
	v_add_f64 v[42:43], v[42:43], v[20:21]
	v_add_f64 v[50:51], v[66:67], v[42:43]
	v_cvt_i32_f64_e32 v2, v[50:51]
	v_cvt_f64_i32_e32 v[50:51], v2
	v_add_f64 v[42:43], v[42:43], -v[50:51]
	v_add_f64 v[54:55], v[66:67], -v[54:55]
	v_add_f64 v[50:51], v[66:67], v[42:43]
	v_add_f64 v[54:55], v[84:85], -v[54:55]
	v_add_f64 v[42:43], v[50:51], -v[42:43]
	v_cmp_le_f64_e32 vcc, 0.5, v[50:51]
	v_add_f64 v[32:33], v[54:55], v[32:33]
	v_add_f64 v[42:43], v[66:67], -v[42:43]
	v_cndmask_b32_e32 v21, 0, v126, vcc
	v_add_f64 v[42:43], v[32:33], v[42:43]
	v_add_f64 v[50:51], v[50:51], -v[20:21]
	v_add_f64 v[52:53], v[50:51], v[42:43]
	s_mov_b32 s16, s14
	v_mul_f64 v[54:55], v[52:53], s[16:17]
	v_add_f64 v[50:51], v[52:53], -v[50:51]
	v_fma_f64 v[56:57], v[52:53], s[16:17], -v[54:55]
	s_mov_b32 s79, s77
	v_add_f64 v[42:43], v[42:43], -v[50:51]
	v_fmac_f64_e32 v[56:57], s[78:79], v[52:53]
	v_fmac_f64_e32 v[56:57], s[16:17], v[42:43]
	v_add_f64 v[50:51], v[54:55], v[56:57]
	v_add_f64 v[42:43], v[50:51], -v[54:55]
	v_addc_co_u32_e64 v32, s[2:3], 0, v2, vcc
	v_add_f64 v[54:55], v[56:57], -v[42:43]
	s_or_saveexec_b64 s[2:3], s[4:5]
	v_add_f64 v[56:57], v[16:17], v[16:17]
	s_xor_b64 exec, exec, s[2:3]
	s_cbranch_execnz .LBB1_116
	s_branch .LBB1_117
.LBB1_115:                              ;   in Loop: Header=BB1_93 Depth=3
	s_or_saveexec_b64 s[2:3], s[4:5]
	v_add_f64 v[56:57], v[16:17], v[16:17]
	s_xor_b64 exec, exec, s[2:3]
	s_cbranch_execz .LBB1_117
.LBB1_116:                              ;   in Loop: Header=BB1_93 Depth=3
	v_mul_f64 v[32:33], |v[74:75]|, s[80:81]
	v_rndne_f64_e32 v[32:33], v[32:33]
	v_fma_f64 v[42:43], v[32:33], s[14:15], |v[74:75]|
	v_mul_f64 v[50:51], v[32:33], s[82:83]
	v_add_f64 v[66:67], v[42:43], v[50:51]
	v_fma_f64 v[52:53], s[82:83], v[32:33], v[42:43]
	s_mov_b32 s76, s82
	v_add_f64 v[42:43], v[42:43], -v[66:67]
	v_fma_f64 v[54:55], s[76:77], v[32:33], v[50:51]
	v_add_f64 v[42:43], v[42:43], v[50:51]
	v_add_f64 v[50:51], v[66:67], -v[52:53]
	v_add_f64 v[42:43], v[50:51], v[42:43]
	v_add_f64 v[42:43], v[42:43], -v[54:55]
	v_fmac_f64_e32 v[42:43], s[88:89], v[32:33]
	v_add_f64 v[50:51], v[52:53], v[42:43]
	v_add_f64 v[52:53], v[50:51], -v[52:53]
	v_add_f64 v[54:55], v[42:43], -v[52:53]
	v_cvt_i32_f64_e32 v32, v[32:33]
.LBB1_117:                              ;   in Loop: Header=BB1_93 Depth=3
	s_or_b64 exec, exec, s[2:3]
	v_mul_f64 v[48:49], v[48:49], v[62:63]
	v_div_scale_f64 v[62:63], s[2:3], v[48:49], v[48:49], 1.0
	v_rcp_f64_e32 v[66:67], v[62:63]
	v_add_f64 v[16:17], v[16:17], -1.0
	v_add_f64 v[58:59], v[6:7], v[58:59]
	s_mov_b32 s2, 0xb42fdfa7
	v_fma_f64 v[68:69], -v[62:63], v[66:67], 1.0
	v_fmac_f64_e32 v[66:67], v[66:67], v[68:69]
	v_fma_f64 v[68:69], -v[62:63], v[66:67], 1.0
	v_fmac_f64_e32 v[66:67], v[66:67], v[68:69]
	v_div_scale_f64 v[68:69], vcc, 1.0, v[48:49], 1.0
	v_mul_f64 v[78:79], v[68:69], v[66:67]
	v_fma_f64 v[62:63], -v[62:63], v[78:79], v[68:69]
	s_mov_b32 s3, 0xbe5ae600
	s_nop 0
	v_div_fmas_f64 v[62:63], v[62:63], v[66:67], v[78:79]
	v_div_fixup_f64 v[48:49], v[62:63], v[48:49], 1.0
	v_mul_f64 v[62:63], v[112:113], v[16:17]
	v_fma_f64 v[56:57], v[56:57], v[58:59], -v[62:63]
	v_add_f64 v[58:59], v[44:45], v[44:45]
	v_mul_f64 v[44:45], v[44:45], v[58:59]
	v_mul_f64 v[16:17], v[16:17], v[44:45]
	v_add_f64 v[56:57], v[56:57], -v[116:117]
	v_mul_f64 v[16:17], v[16:17], v[60:61]
	v_fma_f64 v[16:17], v[56:57], v[48:49], -v[16:17]
	v_mul_f64 v[78:79], v[122:123], -v[16:17]
	v_mul_f64 v[44:45], v[40:41], v[40:41]
	v_pk_mov_b32 v[16:17], s[2:3], s[2:3] op_sel:[0,1]
	v_fma_f64 v[56:57], s[38:39], v[44:45], v[16:17]
	v_fma_f64 v[56:57], v[44:45], v[56:57], s[40:41]
	;; [unrolled: 1-line block ×3, first 2 shown]
	s_mov_b32 s2, 0x9037ab78
	v_mul_f64 v[48:49], v[40:41], -v[44:45]
	v_fma_f64 v[56:57], v[44:45], v[56:57], s[44:45]
	v_mul_f64 v[58:59], v[64:65], 0.5
	s_mov_b32 s3, 0x3e21eeb6
	v_fmac_f64_e32 v[58:59], v[48:49], v[56:57]
	v_pk_mov_b32 v[62:63], s[2:3], s[2:3] op_sel:[0,1]
	v_fma_f64 v[56:57], v[44:45], v[58:59], -v[64:65]
	v_fma_f64 v[66:67], s[22:23], v[44:45], v[62:63]
	v_fmac_f64_e32 v[56:57], s[34:35], v[48:49]
	v_fma_f64 v[66:67], v[44:45], v[66:67], s[24:25]
	v_add_f64 v[48:49], v[40:41], -v[56:57]
	v_mul_f64 v[56:57], v[44:45], 0.5
	v_fma_f64 v[66:67], v[44:45], v[66:67], s[26:27]
	v_add_f64 v[58:59], -v[56:57], 1.0
	v_fma_f64 v[66:67], v[44:45], v[66:67], s[28:29]
	v_mul_f64 v[60:61], v[44:45], v[44:45]
	v_fma_f64 v[44:45], v[44:45], v[66:67], s[30:31]
	v_add_f64 v[66:67], -v[58:59], 1.0
	v_add_f64 v[56:57], v[66:67], -v[56:57]
	v_fma_f64 v[40:41], v[40:41], -v[64:65], v[56:57]
	v_and_b32_e32 v2, 1, v31
	v_fmac_f64_e32 v[40:41], v[60:61], v[44:45]
	v_lshlrev_b32_e32 v4, 30, v31
	v_cmp_eq_u32_e32 vcc, 0, v2
	v_add_f64 v[40:41], v[58:59], v[40:41]
	v_xor_b32_e32 v4, v4, v23
	v_cndmask_b32_e32 v3, v41, v49, vcc
	v_and_b32_e32 v4, 0x80000000, v4
	v_cndmask_b32_e32 v2, v40, v48, vcc
	v_xor_b32_e32 v3, v3, v4
	v_cndmask_b32_e64 v22, 0, v2, s[0:1]
	v_cndmask_b32_e64 v23, v120, v3, s[0:1]
	v_mul_f64 v[40:41], v[22:23], v[22:23]
	v_cmp_gt_f64_e32 vcc, s[90:91], v[22:23]
	v_cndmask_b32_e32 v65, v41, v121, vcc
	v_cndmask_b32_e32 v64, v40, v111, vcc
	;; [unrolled: 1-line block ×4, first 2 shown]
	v_mul_f64 v[22:23], -v[22:23], v[46:47]
	v_mul_f64 v[46:47], v[64:65], v[64:65]
	v_div_scale_f64 v[48:49], s[0:1], v[46:47], v[46:47], v[14:15]
	v_rcp_f64_e32 v[56:57], v[48:49]
	v_fma_f64 v[42:43], s[92:93], v[0:1], v[26:27]
	v_fma_f64 v[40:41], -2.0, v[76:77], v[70:71]
	v_fmac_f64_e32 v[42:43], s[62:63], v[78:79]
	v_fma_f64 v[58:59], -v[48:49], v[56:57], 1.0
	v_fmac_f64_e32 v[56:57], v[56:57], v[58:59]
	v_fma_f64 v[58:59], -v[48:49], v[56:57], 1.0
	v_fmac_f64_e32 v[56:57], v[56:57], v[58:59]
	v_div_scale_f64 v[58:59], vcc, v[14:15], v[46:47], v[14:15]
	v_mul_f64 v[60:61], v[58:59], v[56:57]
	v_fma_f64 v[48:49], -v[48:49], v[60:61], v[58:59]
	v_add_f64 v[40:41], v[6:7], v[40:41]
	s_nop 0
	v_div_fmas_f64 v[48:49], v[48:49], v[56:57], v[60:61]
	v_div_fixup_f64 v[46:47], v[48:49], v[46:47], v[14:15]
	v_mul_f64 v[44:45], v[40:41], -v[42:43]
	v_add_f64 v[46:47], v[46:47], -v[6:7]
	v_mul_f64 v[44:45], v[44:45], v[72:73]
	v_mul_f64 v[22:23], v[46:47], v[22:23]
	;; [unrolled: 1-line block ×6, first 2 shown]
	v_mul_f64 v[46:47], v[44:45], 0.5
	v_fma_f64 v[58:59], s[22:23], v[44:45], v[62:63]
	v_add_f64 v[48:49], -v[46:47], 1.0
	v_fma_f64 v[58:59], v[44:45], v[58:59], s[24:25]
	v_add_f64 v[56:57], -v[48:49], 1.0
	v_fma_f64 v[58:59], v[44:45], v[58:59], s[26:27]
	v_add_f64 v[46:47], v[56:57], -v[46:47]
	v_fma_f64 v[58:59], v[44:45], v[58:59], s[28:29]
	v_fma_f64 v[16:17], s[38:39], v[44:45], v[16:17]
	v_mul_f64 v[56:57], v[44:45], v[44:45]
	v_fma_f64 v[58:59], v[44:45], v[58:59], s[30:31]
	v_fma_f64 v[46:47], v[50:51], -v[54:55], v[46:47]
	v_fma_f64 v[16:17], v[44:45], v[16:17], s[40:41]
	v_fmac_f64_e32 v[46:47], v[56:57], v[58:59]
	v_fma_f64 v[16:17], v[44:45], v[16:17], s[42:43]
	v_add_f64 v[46:47], v[48:49], v[46:47]
	v_fma_f64 v[16:17], v[44:45], v[16:17], s[44:45]
	v_mul_f64 v[48:49], v[50:51], -v[44:45]
	v_mul_f64 v[56:57], v[54:55], 0.5
	v_fmac_f64_e32 v[56:57], v[48:49], v[16:17]
	v_fma_f64 v[16:17], v[44:45], v[56:57], -v[54:55]
	v_fmac_f64_e32 v[16:17], s[34:35], v[48:49]
	v_add_f64 v[16:17], v[50:51], -v[16:17]
	v_and_b32_e32 v3, 1, v32
	s_mov_b32 s86, s92
	v_xor_b32_e32 v2, 0x80000000, v17
	v_cmp_eq_u32_e32 vcc, 0, v3
	v_lshlrev_b32_e32 v4, 30, v32
	v_fma_f64 v[82:83], s[86:87], v[124:125], v[118:119]
	s_mov_b32 s72, s62
	v_cndmask_b32_e32 v2, v2, v47, vcc
	v_and_b32_e32 v4, 0x80000000, v4
	v_fmac_f64_e32 v[82:83], s[72:73], v[102:103]
	s_mov_b32 s52, s92
	v_cmp_class_f64_e64 s[0:1], v[74:75], s33
	v_cndmask_b32_e32 v3, v16, v46, vcc
	v_xor_b32_e32 v2, v2, v4
	v_fmac_f64_e32 v[82:83], s[52:53], v[22:23]
	v_cndmask_b32_e64 v44, 0, v3, s[0:1]
	v_cndmask_b32_e64 v45, v120, v2, s[0:1]
	v_mul_f64 v[58:59], v[82:83], v[82:83]
	v_mul_f64 v[16:17], v[44:45], v[44:45]
	v_fma_f64 v[66:67], v[6:7], v[16:17], v[58:59]
	v_div_scale_f64 v[16:17], s[2:3], v[66:67], v[66:67], 1.0
	v_rcp_f64_e32 v[32:33], v[16:17]
	v_fma_f64 v[52:53], s[86:87], v[34:35], v[28:29]
	v_fmac_f64_e32 v[52:53], s[72:73], v[106:107]
	v_fma_f64 v[90:91], s[94:95], v[114:115], v[100:101]
	v_fma_f64 v[46:47], -v[16:17], v[32:33], 1.0
	v_fmac_f64_e32 v[32:33], v[32:33], v[46:47]
	v_fma_f64 v[46:47], -v[16:17], v[32:33], 1.0
	v_fmac_f64_e32 v[32:33], v[32:33], v[46:47]
	v_div_scale_f64 v[46:47], vcc, 1.0, v[66:67], 1.0
	v_mul_f64 v[48:49], v[46:47], v[32:33]
	v_fma_f64 v[16:17], -v[16:17], v[48:49], v[46:47]
	v_fmac_f64_e32 v[52:53], s[52:53], v[104:105]
	s_nop 0
	v_div_fmas_f64 v[16:17], v[16:17], v[32:33], v[48:49]
	v_div_fixup_f64 v[60:61], v[16:17], v[66:67], 1.0
	v_fmac_f64_e32 v[90:91], 0x40040000, v[10:11]
	v_mul_f64 v[16:17], v[60:61], -v[52:53]
	v_fmac_f64_e32 v[90:91], s[58:59], v[98:99]
	v_mul_f64 v[16:17], v[122:123], v[16:17]
	s_mov_b32 s74, s58
	v_fmac_f64_e32 v[90:91], s[74:75], v[16:17]
	v_cmp_nlt_f64_e64 s[10:11], |v[90:91]|, s[20:21]
	v_trig_preop_f64 v[54:55], |v[90:91]|, 0
	v_trig_preop_f64 v[52:53], |v[90:91]|, 1
	v_ldexp_f64 v[56:57], |v[90:91]|, s36
	v_trig_preop_f64 v[48:49], |v[90:91]|, 2
	v_and_b32_e32 v33, 0x7fffffff, v91
                                        ; implicit-def: $vgpr31
                                        ; implicit-def: $vgpr68_vgpr69
                                        ; implicit-def: $vgpr88_vgpr89
	s_and_saveexec_b64 s[2:3], s[10:11]
	s_xor_b64 s[4:5], exec, s[2:3]
	s_cbranch_execz .LBB1_119
; %bb.118:                              ;   in Loop: Header=BB1_93 Depth=3
	v_cmp_ge_f64_e64 vcc, |v[90:91]|, s[64:65]
	v_cndmask_b32_e32 v47, v33, v57, vcc
	v_cndmask_b32_e32 v46, v90, v56, vcc
	v_mul_f64 v[62:63], v[54:55], v[46:47]
	v_mul_f64 v[50:51], v[52:53], v[46:47]
	v_fma_f64 v[68:69], v[54:55], v[46:47], -v[62:63]
	v_add_f64 v[84:85], v[50:51], v[68:69]
	v_add_f64 v[86:87], v[62:63], v[84:85]
	v_ldexp_f64 v[88:89], v[86:87], -2
	v_fract_f64_e32 v[108:109], v[88:89]
	v_cmp_neq_f64_e64 vcc, |v[88:89]|, s[46:47]
	v_cndmask_b32_e32 v89, 0, v109, vcc
	v_cndmask_b32_e32 v88, 0, v108, vcc
	v_add_f64 v[108:109], v[84:85], -v[50:51]
	v_add_f64 v[68:69], v[68:69], -v[108:109]
	;; [unrolled: 1-line block ×4, first 2 shown]
	v_add_f64 v[68:69], v[68:69], v[108:109]
	v_fma_f64 v[50:51], v[52:53], v[46:47], -v[50:51]
	v_mul_f64 v[108:109], v[48:49], v[46:47]
	v_add_f64 v[112:113], v[108:109], v[50:51]
	v_add_f64 v[116:117], v[112:113], v[68:69]
	v_add_f64 v[62:63], v[86:87], -v[62:63]
	v_add_f64 v[86:87], v[116:117], -v[112:113]
	;; [unrolled: 1-line block ×5, first 2 shown]
	v_add_f64 v[84:85], v[62:63], v[116:117]
	v_add_f64 v[86:87], v[112:113], -v[86:87]
	v_add_f64 v[62:63], v[84:85], -v[62:63]
	v_add_f64 v[68:69], v[68:69], v[86:87]
	v_add_f64 v[86:87], v[112:113], -v[108:109]
	v_add_f64 v[62:63], v[116:117], -v[62:63]
	buffer_load_dword v116, off, s[96:99], 0 offset:8 ; 4-byte Folded Reload
	buffer_load_dword v117, off, s[96:99], 0 offset:12 ; 4-byte Folded Reload
	v_add_f64 v[50:51], v[50:51], -v[86:87]
	v_add_f64 v[86:87], v[112:113], -v[86:87]
	buffer_load_dword v112, off, s[96:99], 0 ; 4-byte Folded Reload
	buffer_load_dword v113, off, s[96:99], 0 offset:4 ; 4-byte Folded Reload
	v_add_f64 v[86:87], v[108:109], -v[86:87]
	v_add_f64 v[50:51], v[50:51], v[86:87]
	v_add_f64 v[50:51], v[50:51], v[68:69]
	v_fma_f64 v[46:47], v[48:49], v[46:47], -v[108:109]
	v_add_f64 v[46:47], v[46:47], v[50:51]
	v_ldexp_f64 v[50:51], v[88:89], 2
	v_add_f64 v[46:47], v[62:63], v[46:47]
	v_add_f64 v[62:63], v[84:85], v[50:51]
	v_cmp_gt_f64_e32 vcc, 0, v[62:63]
	v_mov_b32_e32 v2, 0x40100000
	v_cndmask_b32_e32 v21, 0, v2, vcc
	v_add_f64 v[50:51], v[50:51], v[20:21]
	v_add_f64 v[62:63], v[84:85], v[50:51]
	v_cvt_i32_f64_e32 v2, v[62:63]
	v_cvt_f64_i32_e32 v[62:63], v2
	v_add_f64 v[50:51], v[50:51], -v[62:63]
	v_add_f64 v[62:63], v[84:85], v[50:51]
	v_add_f64 v[50:51], v[62:63], -v[50:51]
	v_cmp_le_f64_e32 vcc, 0.5, v[62:63]
	v_add_f64 v[50:51], v[84:85], -v[50:51]
	v_cndmask_b32_e32 v21, 0, v126, vcc
	v_add_f64 v[46:47], v[46:47], v[50:51]
	v_add_f64 v[50:51], v[62:63], -v[20:21]
	v_add_f64 v[62:63], v[50:51], v[46:47]
	v_add_f64 v[50:51], v[62:63], -v[50:51]
	s_mov_b32 s16, s14
	v_add_f64 v[46:47], v[46:47], -v[50:51]
	v_mul_f64 v[50:51], v[62:63], s[16:17]
	v_fma_f64 v[84:85], v[62:63], s[16:17], -v[50:51]
	s_mov_b32 s79, s77
	v_fmac_f64_e32 v[84:85], s[78:79], v[62:63]
	v_fmac_f64_e32 v[84:85], s[16:17], v[46:47]
	v_add_f64 v[68:69], v[50:51], v[84:85]
	v_add_f64 v[46:47], v[68:69], -v[50:51]
	v_addc_co_u32_e64 v31, s[2:3], 0, v2, vcc
	v_add_f64 v[88:89], v[84:85], -v[46:47]
	s_andn2_saveexec_b64 s[2:3], s[4:5]
	s_cbranch_execz .LBB1_121
	s_branch .LBB1_120
.LBB1_119:                              ;   in Loop: Header=BB1_93 Depth=3
	s_andn2_saveexec_b64 s[2:3], s[4:5]
	s_cbranch_execz .LBB1_121
.LBB1_120:                              ;   in Loop: Header=BB1_93 Depth=3
	v_mul_f64 v[46:47], |v[90:91]|, s[80:81]
	v_rndne_f64_e32 v[46:47], v[46:47]
	v_fma_f64 v[50:51], v[46:47], s[14:15], |v[90:91]|
	v_mul_f64 v[68:69], v[46:47], s[82:83]
	v_add_f64 v[86:87], v[50:51], v[68:69]
	v_fma_f64 v[62:63], s[82:83], v[46:47], v[50:51]
	s_mov_b32 s76, s82
	v_add_f64 v[50:51], v[50:51], -v[86:87]
	v_fma_f64 v[84:85], s[76:77], v[46:47], v[68:69]
	v_add_f64 v[50:51], v[50:51], v[68:69]
	v_add_f64 v[68:69], v[86:87], -v[62:63]
	v_add_f64 v[50:51], v[68:69], v[50:51]
	v_add_f64 v[50:51], v[50:51], -v[84:85]
	v_fmac_f64_e32 v[50:51], s[88:89], v[46:47]
	v_add_f64 v[68:69], v[62:63], v[50:51]
	v_add_f64 v[62:63], v[68:69], -v[62:63]
	v_add_f64 v[88:89], v[50:51], -v[62:63]
	v_cvt_i32_f64_e32 v31, v[46:47]
.LBB1_121:                              ;   in Loop: Header=BB1_93 Depth=3
	s_or_b64 exec, exec, s[2:3]
                                        ; implicit-def: $vgpr32
                                        ; implicit-def: $vgpr46_vgpr47
                                        ; implicit-def: $vgpr50_vgpr51
	s_and_saveexec_b64 s[2:3], s[10:11]
	s_xor_b64 s[4:5], exec, s[2:3]
	s_cbranch_execz .LBB1_123
; %bb.122:                              ;   in Loop: Header=BB1_93 Depth=3
	v_cmp_ge_f64_e64 vcc, |v[90:91]|, s[64:65]
	v_cndmask_b32_e32 v33, v33, v57, vcc
	v_cndmask_b32_e32 v32, v90, v56, vcc
	v_mul_f64 v[50:51], v[54:55], v[32:33]
	v_mul_f64 v[46:47], v[52:53], v[32:33]
	v_fma_f64 v[54:55], v[54:55], v[32:33], -v[50:51]
	v_add_f64 v[56:57], v[46:47], v[54:55]
	v_add_f64 v[62:63], v[50:51], v[56:57]
	v_ldexp_f64 v[84:85], v[62:63], -2
	v_fract_f64_e32 v[86:87], v[84:85]
	v_cmp_neq_f64_e64 vcc, |v[84:85]|, s[46:47]
	v_cndmask_b32_e32 v85, 0, v87, vcc
	v_cndmask_b32_e32 v84, 0, v86, vcc
	v_add_f64 v[86:87], v[56:57], -v[46:47]
	v_add_f64 v[54:55], v[54:55], -v[86:87]
	;; [unrolled: 1-line block ×4, first 2 shown]
	v_fma_f64 v[46:47], v[52:53], v[32:33], -v[46:47]
	v_mul_f64 v[52:53], v[48:49], v[32:33]
	v_add_f64 v[54:55], v[54:55], v[86:87]
	v_add_f64 v[86:87], v[52:53], v[46:47]
	;; [unrolled: 1-line block ×3, first 2 shown]
	v_add_f64 v[50:51], v[62:63], -v[50:51]
	v_add_f64 v[62:63], v[108:109], -v[86:87]
	;; [unrolled: 1-line block ×5, first 2 shown]
	v_add_f64 v[54:55], v[54:55], v[62:63]
	v_add_f64 v[62:63], v[86:87], -v[52:53]
	v_add_f64 v[46:47], v[46:47], -v[62:63]
	;; [unrolled: 1-line block ×4, first 2 shown]
	v_add_f64 v[46:47], v[46:47], v[62:63]
	v_add_f64 v[50:51], v[56:57], -v[50:51]
	v_add_f64 v[46:47], v[46:47], v[54:55]
	v_fma_f64 v[32:33], v[48:49], v[32:33], -v[52:53]
	v_add_f64 v[56:57], v[50:51], v[108:109]
	v_add_f64 v[32:33], v[32:33], v[46:47]
	v_ldexp_f64 v[46:47], v[84:85], 2
	v_add_f64 v[48:49], v[56:57], v[46:47]
	v_cmp_gt_f64_e32 vcc, 0, v[48:49]
	v_mov_b32_e32 v2, 0x40100000
	v_cndmask_b32_e32 v21, 0, v2, vcc
	v_add_f64 v[46:47], v[46:47], v[20:21]
	v_add_f64 v[48:49], v[56:57], v[46:47]
	v_cvt_i32_f64_e32 v2, v[48:49]
	v_cvt_f64_i32_e32 v[48:49], v2
	v_add_f64 v[46:47], v[46:47], -v[48:49]
	v_add_f64 v[50:51], v[56:57], -v[50:51]
	v_add_f64 v[48:49], v[56:57], v[46:47]
	v_add_f64 v[50:51], v[108:109], -v[50:51]
	v_add_f64 v[46:47], v[48:49], -v[46:47]
	v_cmp_le_f64_e32 vcc, 0.5, v[48:49]
	v_add_f64 v[32:33], v[50:51], v[32:33]
	v_add_f64 v[46:47], v[56:57], -v[46:47]
	v_cndmask_b32_e32 v21, 0, v126, vcc
	v_add_f64 v[46:47], v[32:33], v[46:47]
	v_add_f64 v[48:49], v[48:49], -v[20:21]
	v_add_f64 v[50:51], v[48:49], v[46:47]
	v_add_f64 v[48:49], v[50:51], -v[48:49]
	s_mov_b32 s16, s14
	v_add_f64 v[46:47], v[46:47], -v[48:49]
	v_mul_f64 v[48:49], v[50:51], s[16:17]
	v_fma_f64 v[52:53], v[50:51], s[16:17], -v[48:49]
	s_mov_b32 s79, s77
	v_fmac_f64_e32 v[52:53], s[78:79], v[50:51]
	v_fmac_f64_e32 v[52:53], s[16:17], v[46:47]
	v_add_f64 v[46:47], v[48:49], v[52:53]
	v_add_f64 v[48:49], v[46:47], -v[48:49]
	v_addc_co_u32_e64 v32, s[2:3], 0, v2, vcc
	v_add_f64 v[50:51], v[52:53], -v[48:49]
	s_or_saveexec_b64 s[2:3], s[4:5]
	v_add_f64 v[86:87], v[76:77], v[76:77]
	s_xor_b64 exec, exec, s[2:3]
	s_cbranch_execnz .LBB1_124
	s_branch .LBB1_125
.LBB1_123:                              ;   in Loop: Header=BB1_93 Depth=3
	s_or_saveexec_b64 s[2:3], s[4:5]
	v_add_f64 v[86:87], v[76:77], v[76:77]
	s_xor_b64 exec, exec, s[2:3]
	s_cbranch_execz .LBB1_125
.LBB1_124:                              ;   in Loop: Header=BB1_93 Depth=3
	v_mul_f64 v[32:33], |v[90:91]|, s[80:81]
	v_rndne_f64_e32 v[32:33], v[32:33]
	v_fma_f64 v[46:47], v[32:33], s[14:15], |v[90:91]|
	v_mul_f64 v[50:51], v[32:33], s[82:83]
	v_add_f64 v[54:55], v[46:47], v[50:51]
	v_fma_f64 v[48:49], s[82:83], v[32:33], v[46:47]
	s_mov_b32 s76, s82
	v_add_f64 v[46:47], v[46:47], -v[54:55]
	v_fma_f64 v[52:53], s[76:77], v[32:33], v[50:51]
	v_add_f64 v[46:47], v[46:47], v[50:51]
	v_add_f64 v[50:51], v[54:55], -v[48:49]
	v_add_f64 v[46:47], v[50:51], v[46:47]
	v_add_f64 v[50:51], v[46:47], -v[52:53]
	v_fmac_f64_e32 v[50:51], s[88:89], v[32:33]
	v_add_f64 v[46:47], v[48:49], v[50:51]
	v_add_f64 v[48:49], v[46:47], -v[48:49]
	v_add_f64 v[50:51], v[50:51], -v[48:49]
	v_cvt_i32_f64_e32 v32, v[32:33]
.LBB1_125:                              ;   in Loop: Header=BB1_93 Depth=3
	s_or_b64 exec, exec, s[2:3]
	v_fma_f64 v[62:63], s[66:67], v[114:115], v[100:101]
	v_fmac_f64_e32 v[62:63], 0x3fd5e000, v[10:11]
	v_mul_f64 v[10:11], v[40:41], v[80:81]
	v_div_scale_f64 v[40:41], s[2:3], v[10:11], v[10:11], 1.0
	v_rcp_f64_e32 v[48:49], v[40:41]
	s_mov_b32 s2, 0xb42fdfa7
	s_mov_b32 s3, 0xbe5ae600
	v_and_b32_e32 v2, 1, v110
	v_fma_f64 v[54:55], -v[40:41], v[48:49], 1.0
	v_fmac_f64_e32 v[48:49], v[48:49], v[54:55]
	v_fma_f64 v[54:55], -v[40:41], v[48:49], 1.0
	v_fmac_f64_e32 v[48:49], v[48:49], v[54:55]
	v_div_scale_f64 v[54:55], vcc, 1.0, v[10:11], 1.0
	v_mul_f64 v[56:57], v[54:55], v[48:49]
	v_fma_f64 v[40:41], -v[40:41], v[56:57], v[54:55]
	v_add_f64 v[54:55], v[42:43], v[42:43]
	s_nop 0
	v_div_fmas_f64 v[40:41], v[40:41], v[48:49], v[56:57]
	v_div_fixup_f64 v[40:41], v[40:41], v[10:11], 1.0
	v_add_f64 v[10:11], v[6:7], v[70:71]
	v_mul_f64 v[70:71], v[86:87], v[10:11]
	v_add_f64 v[10:11], v[76:77], -1.0
	v_mul_f64 v[42:43], v[42:43], v[54:55]
	s_waitcnt vmcnt(0)
	v_fma_f64 v[48:49], -v[112:113], v[10:11], v[70:71]
	v_mul_f64 v[10:11], v[10:11], v[42:43]
	v_add_f64 v[48:49], v[48:49], -v[116:117]
	v_mul_f64 v[10:11], v[10:11], v[72:73]
	v_fma_f64 v[10:11], v[48:49], v[40:41], -v[10:11]
	v_mul_f64 v[48:49], v[8:9], v[8:9]
	v_pk_mov_b32 v[42:43], s[2:3], s[2:3] op_sel:[0,1]
	v_fma_f64 v[56:57], s[38:39], v[48:49], v[42:43]
	v_fma_f64 v[56:57], v[48:49], v[56:57], s[40:41]
	;; [unrolled: 1-line block ×3, first 2 shown]
	s_mov_b32 s2, 0x9037ab78
	v_mul_f64 v[54:55], v[8:9], -v[48:49]
	v_fma_f64 v[56:57], v[48:49], v[56:57], s[44:45]
	v_mul_f64 v[72:73], v[38:39], 0.5
	s_mov_b32 s3, 0x3e21eeb6
	v_fmac_f64_e32 v[72:73], v[54:55], v[56:57]
	v_pk_mov_b32 v[112:113], s[2:3], s[2:3] op_sel:[0,1]
	v_fma_f64 v[56:57], v[48:49], v[72:73], -v[38:39]
	v_fma_f64 v[116:117], s[22:23], v[48:49], v[112:113]
	v_fmac_f64_e32 v[56:57], s[34:35], v[54:55]
	v_fma_f64 v[116:117], v[48:49], v[116:117], s[24:25]
	v_add_f64 v[54:55], v[8:9], -v[56:57]
	v_mul_f64 v[56:57], v[48:49], 0.5
	v_fma_f64 v[116:117], v[48:49], v[116:117], s[26:27]
	v_add_f64 v[72:73], -v[56:57], 1.0
	v_fma_f64 v[116:117], v[48:49], v[116:117], s[28:29]
	v_mul_f64 v[76:77], v[48:49], v[48:49]
	v_fma_f64 v[48:49], v[48:49], v[116:117], s[30:31]
	v_add_f64 v[116:117], -v[72:73], 1.0
	v_add_f64 v[56:57], v[116:117], -v[56:57]
	v_fma_f64 v[8:9], v[8:9], -v[38:39], v[56:57]
	v_fmac_f64_e32 v[8:9], v[76:77], v[48:49]
	v_lshlrev_b32_e32 v4, 30, v110
	v_cmp_eq_u32_e32 vcc, 0, v2
	v_add_f64 v[8:9], v[72:73], v[8:9]
	v_xor_b32_e32 v4, v4, v75
	v_cndmask_b32_e32 v3, v9, v55, vcc
	v_and_b32_e32 v4, 0x80000000, v4
	v_cndmask_b32_e32 v2, v8, v54, vcc
	v_xor_b32_e32 v3, v3, v4
	v_cndmask_b32_e64 v8, 0, v2, s[0:1]
	v_cndmask_b32_e64 v9, v120, v3, s[0:1]
	v_mul_f64 v[38:39], v[8:9], v[8:9]
	v_cmp_gt_f64_e32 vcc, s[90:91], v[8:9]
	v_cndmask_b32_e32 v49, v39, v121, vcc
	v_cndmask_b32_e32 v48, v38, v111, vcc
	;; [unrolled: 1-line block ×4, first 2 shown]
	v_mul_f64 v[8:9], -v[8:9], v[44:45]
	v_mul_f64 v[44:45], v[48:49], v[48:49]
	v_div_scale_f64 v[54:55], s[0:1], v[44:45], v[44:45], v[14:15]
	v_rcp_f64_e32 v[72:73], v[54:55]
	s_mov_b32 s86, s92
	v_fma_f64 v[108:109], s[86:87], v[0:1], v[26:27]
	s_mov_b32 s72, s62
	v_fma_f64 v[74:75], -v[54:55], v[72:73], 1.0
	v_fmac_f64_e32 v[72:73], v[72:73], v[74:75]
	v_fma_f64 v[74:75], -v[54:55], v[72:73], 1.0
	v_fmac_f64_e32 v[72:73], v[72:73], v[74:75]
	v_div_scale_f64 v[74:75], vcc, v[14:15], v[44:45], v[14:15]
	v_mul_f64 v[76:77], v[74:75], v[72:73]
	v_fma_f64 v[54:55], -v[54:55], v[76:77], v[74:75]
	v_fmac_f64_e32 v[108:109], s[72:73], v[78:79]
	s_nop 0
	v_div_fmas_f64 v[54:55], v[54:55], v[72:73], v[76:77]
	v_div_fixup_f64 v[44:45], v[54:55], v[44:45], v[14:15]
	v_mul_f64 v[10:11], v[122:123], -v[10:11]
	s_mov_b32 s52, s92
	v_fma_f64 v[38:39], -2.0, v[82:83], v[58:59]
	v_add_f64 v[44:45], v[44:45], -v[6:7]
	v_fmac_f64_e32 v[108:109], s[52:53], v[10:11]
	v_add_f64 v[56:57], v[6:7], v[38:39]
	v_mul_f64 v[8:9], v[44:45], v[8:9]
	v_mul_f64 v[38:39], v[56:57], -v[108:109]
	v_mul_f64 v[8:9], v[8:9], v[60:61]
	v_mul_f64 v[38:39], v[38:39], v[60:61]
	;; [unrolled: 1-line block ×5, first 2 shown]
	v_mul_f64 v[38:39], v[8:9], 0.5
	v_fma_f64 v[72:73], s[22:23], v[8:9], v[112:113]
	v_add_f64 v[44:45], -v[38:39], 1.0
	v_fma_f64 v[72:73], v[8:9], v[72:73], s[24:25]
	v_add_f64 v[54:55], -v[44:45], 1.0
	v_fma_f64 v[72:73], v[8:9], v[72:73], s[26:27]
	v_add_f64 v[38:39], v[54:55], -v[38:39]
	v_fma_f64 v[72:73], v[8:9], v[72:73], s[28:29]
	v_fma_f64 v[42:43], s[38:39], v[8:9], v[42:43]
	v_mul_f64 v[54:55], v[8:9], v[8:9]
	v_fma_f64 v[72:73], v[8:9], v[72:73], s[30:31]
	v_fma_f64 v[38:39], v[46:47], -v[50:51], v[38:39]
	v_fma_f64 v[42:43], v[8:9], v[42:43], s[40:41]
	v_fmac_f64_e32 v[38:39], v[54:55], v[72:73]
	v_fma_f64 v[42:43], v[8:9], v[42:43], s[42:43]
	v_add_f64 v[38:39], v[44:45], v[38:39]
	v_fma_f64 v[42:43], v[8:9], v[42:43], s[44:45]
	v_mul_f64 v[44:45], v[46:47], -v[8:9]
	v_mul_f64 v[54:55], v[50:51], 0.5
	v_fmac_f64_e32 v[54:55], v[44:45], v[42:43]
	v_fma_f64 v[8:9], v[8:9], v[54:55], -v[50:51]
	v_fmac_f64_e32 v[8:9], s[34:35], v[44:45]
	v_add_f64 v[8:9], v[46:47], -v[8:9]
	v_and_b32_e32 v3, 1, v32
	v_fma_f64 v[84:85], s[94:95], v[124:125], v[118:119]
	v_xor_b32_e32 v2, 0x80000000, v9
	v_cmp_eq_u32_e32 vcc, 0, v3
	v_lshlrev_b32_e32 v4, 30, v32
	v_fmac_f64_e32 v[84:85], 0x40040000, v[102:103]
	v_cndmask_b32_e32 v2, v2, v39, vcc
	v_and_b32_e32 v4, 0x80000000, v4
	v_fmac_f64_e32 v[84:85], s[58:59], v[22:23]
	s_mov_b32 s74, s58
	v_cmp_class_f64_e64 s[0:1], v[90:91], s33
	v_cndmask_b32_e32 v3, v8, v38, vcc
	v_xor_b32_e32 v2, v2, v4
	v_fmac_f64_e32 v[84:85], s[74:75], v[76:77]
	v_cndmask_b32_e64 v44, 0, v3, s[0:1]
	v_cndmask_b32_e64 v45, v120, v2, s[0:1]
	v_mul_f64 v[46:47], v[84:85], v[84:85]
	v_mul_f64 v[8:9], v[44:45], v[44:45]
	v_fma_f64 v[54:55], v[6:7], v[8:9], v[46:47]
	v_div_scale_f64 v[8:9], s[2:3], v[54:55], v[54:55], 1.0
	v_rcp_f64_e32 v[32:33], v[8:9]
	v_fma_f64 v[52:53], s[94:95], v[34:35], v[28:29]
	v_fmac_f64_e32 v[52:53], 0x40040000, v[106:107]
	v_fmac_f64_e32 v[52:53], s[58:59], v[104:105]
	v_fma_f64 v[38:39], -v[8:9], v[32:33], 1.0
	v_fmac_f64_e32 v[32:33], v[32:33], v[38:39]
	v_fma_f64 v[38:39], -v[8:9], v[32:33], 1.0
	v_fmac_f64_e32 v[32:33], v[32:33], v[38:39]
	v_div_scale_f64 v[38:39], vcc, 1.0, v[54:55], 1.0
	v_mul_f64 v[42:43], v[38:39], v[32:33]
	v_fma_f64 v[8:9], -v[8:9], v[42:43], v[38:39]
	v_fmac_f64_e32 v[52:53], s[74:75], v[74:75]
	s_nop 0
	v_div_fmas_f64 v[8:9], v[8:9], v[32:33], v[42:43]
	v_div_fixup_f64 v[38:39], v[8:9], v[54:55], 1.0
	v_fmac_f64_e32 v[62:63], s[56:57], v[98:99]
	v_mul_f64 v[8:9], v[38:39], -v[52:53]
	v_fmac_f64_e32 v[62:63], s[60:61], v[16:17]
	v_mul_f64 v[8:9], v[122:123], v[8:9]
	v_fmac_f64_e32 v[62:63], 0x3fafa000, v[8:9]
	v_pk_mov_b32 v[92:93], v[118:119], v[118:119] op_sel:[0,1]
	v_cmp_nlt_f64_e64 s[10:11], |v[62:63]|, s[20:21]
	v_trig_preop_f64 v[116:117], |v[62:63]|, 0
	v_trig_preop_f64 v[112:113], |v[62:63]|, 1
	v_ldexp_f64 v[118:119], |v[62:63]|, s36
	v_trig_preop_f64 v[110:111], |v[62:63]|, 2
	v_and_b32_e32 v90, 0x7fffffff, v63
                                        ; implicit-def: $vgpr32
                                        ; implicit-def: $vgpr72_vgpr73
                                        ; implicit-def: $vgpr42_vgpr43
	s_and_saveexec_b64 s[2:3], s[10:11]
	s_xor_b64 s[4:5], exec, s[2:3]
	s_cbranch_execz .LBB1_127
; %bb.126:                              ;   in Loop: Header=BB1_93 Depth=3
	v_cmp_ge_f64_e64 vcc, |v[62:63]|, s[64:65]
	v_cndmask_b32_e32 v33, v90, v119, vcc
	v_cndmask_b32_e32 v32, v62, v118, vcc
	v_mul_f64 v[42:43], v[116:117], v[32:33]
	v_mul_f64 v[36:37], v[112:113], v[32:33]
	v_fma_f64 v[50:51], v[116:117], v[32:33], -v[42:43]
	v_add_f64 v[52:53], v[36:37], v[50:51]
	v_add_f64 v[72:73], v[42:43], v[52:53]
	v_ldexp_f64 v[120:121], v[72:73], -2
	v_fract_f64_e32 v[2:3], v[120:121]
	v_cmp_neq_f64_e64 vcc, |v[120:121]|, s[46:47]
	v_add_f64 v[120:121], v[52:53], -v[36:37]
	v_add_f64 v[50:51], v[50:51], -v[120:121]
	v_add_f64 v[120:121], v[52:53], -v[120:121]
	v_add_f64 v[120:121], v[36:37], -v[120:121]
	v_add_f64 v[50:51], v[50:51], v[120:121]
	v_fma_f64 v[36:37], v[112:113], v[32:33], -v[36:37]
	v_mul_f64 v[120:121], v[110:111], v[32:33]
	v_add_f64 v[4:5], v[120:121], v[36:37]
	v_add_f64 v[42:43], v[72:73], -v[42:43]
	v_add_f64 v[12:13], v[4:5], v[50:51]
	v_add_f64 v[42:43], v[52:53], -v[42:43]
	;; [unrolled: 2-line block ×3, first 2 shown]
	v_add_f64 v[72:73], v[12:13], -v[4:5]
	v_add_f64 v[42:43], v[12:13], -v[42:43]
	;; [unrolled: 1-line block ×5, first 2 shown]
	v_add_f64 v[12:13], v[50:51], v[12:13]
	v_add_f64 v[50:51], v[4:5], -v[120:121]
	v_add_f64 v[4:5], v[4:5], -v[50:51]
	v_add_f64 v[36:37], v[36:37], -v[50:51]
	v_add_f64 v[4:5], v[120:121], -v[4:5]
	v_cndmask_b32_e32 v3, 0, v3, vcc
	v_cndmask_b32_e32 v2, 0, v2, vcc
	v_add_f64 v[4:5], v[36:37], v[4:5]
	v_add_f64 v[4:5], v[4:5], v[12:13]
	v_fma_f64 v[12:13], v[110:111], v[32:33], -v[120:121]
	v_ldexp_f64 v[2:3], v[2:3], 2
	v_add_f64 v[4:5], v[12:13], v[4:5]
	v_add_f64 v[12:13], v[52:53], v[2:3]
	v_cmp_gt_f64_e32 vcc, 0, v[12:13]
	v_mov_b32_e32 v12, 0x40100000
	v_cndmask_b32_e32 v21, 0, v12, vcc
	v_add_f64 v[2:3], v[2:3], v[20:21]
	v_add_f64 v[12:13], v[52:53], v[2:3]
	v_cvt_i32_f64_e32 v18, v[12:13]
	v_cvt_f64_i32_e32 v[12:13], v18
	v_add_f64 v[2:3], v[2:3], -v[12:13]
	v_add_f64 v[12:13], v[52:53], v[2:3]
	v_add_f64 v[2:3], v[12:13], -v[2:3]
	v_cmp_le_f64_e32 vcc, 0.5, v[12:13]
	v_add_f64 v[4:5], v[42:43], v[4:5]
	v_add_f64 v[2:3], v[52:53], -v[2:3]
	v_cndmask_b32_e32 v21, 0, v126, vcc
	v_add_f64 v[2:3], v[4:5], v[2:3]
	v_add_f64 v[4:5], v[12:13], -v[20:21]
	v_add_f64 v[12:13], v[4:5], v[2:3]
	v_add_f64 v[4:5], v[12:13], -v[4:5]
	s_mov_b32 s16, s14
	v_add_f64 v[2:3], v[2:3], -v[4:5]
	v_mul_f64 v[4:5], v[12:13], s[16:17]
	v_fma_f64 v[36:37], v[12:13], s[16:17], -v[4:5]
	s_mov_b32 s79, s77
	v_fmac_f64_e32 v[36:37], s[78:79], v[12:13]
	v_fmac_f64_e32 v[36:37], s[16:17], v[2:3]
	v_add_f64 v[72:73], v[4:5], v[36:37]
	v_add_f64 v[2:3], v[72:73], -v[4:5]
	v_addc_co_u32_e64 v32, s[2:3], 0, v18, vcc
	v_add_f64 v[42:43], v[36:37], -v[2:3]
	s_andn2_saveexec_b64 s[2:3], s[4:5]
	s_cbranch_execz .LBB1_129
	s_branch .LBB1_128
.LBB1_127:                              ;   in Loop: Header=BB1_93 Depth=3
	s_andn2_saveexec_b64 s[2:3], s[4:5]
	s_cbranch_execz .LBB1_129
.LBB1_128:                              ;   in Loop: Header=BB1_93 Depth=3
	v_mul_f64 v[32:33], |v[62:63]|, s[80:81]
	v_rndne_f64_e32 v[32:33], v[32:33]
	v_fma_f64 v[42:43], v[32:33], s[14:15], |v[62:63]|
	v_mul_f64 v[52:53], v[32:33], s[82:83]
	v_add_f64 v[36:37], v[42:43], v[52:53]
	v_fma_f64 v[50:51], s[82:83], v[32:33], v[42:43]
	v_add_f64 v[42:43], v[42:43], -v[36:37]
	s_mov_b32 s76, s82
	v_add_f64 v[42:43], v[42:43], v[52:53]
	v_add_f64 v[36:37], v[36:37], -v[50:51]
	v_fma_f64 v[72:73], s[76:77], v[32:33], v[52:53]
	v_add_f64 v[36:37], v[36:37], v[42:43]
	v_add_f64 v[36:37], v[36:37], -v[72:73]
	v_fmac_f64_e32 v[36:37], s[88:89], v[32:33]
	v_add_f64 v[72:73], v[50:51], v[36:37]
	v_add_f64 v[42:43], v[72:73], -v[50:51]
	v_add_f64 v[42:43], v[36:37], -v[42:43]
	v_cvt_i32_f64_e32 v32, v[32:33]
.LBB1_129:                              ;   in Loop: Header=BB1_93 Depth=3
	s_or_b64 exec, exec, s[2:3]
                                        ; implicit-def: $vgpr33
                                        ; implicit-def: $vgpr50_vgpr51
                                        ; implicit-def: $vgpr52_vgpr53
	s_and_saveexec_b64 s[2:3], s[10:11]
	s_xor_b64 s[4:5], exec, s[2:3]
	s_cbranch_execz .LBB1_131
; %bb.130:                              ;   in Loop: Header=BB1_93 Depth=3
	v_cmp_ge_f64_e64 vcc, |v[62:63]|, s[64:65]
	v_cndmask_b32_e32 v3, v90, v119, vcc
	v_cndmask_b32_e32 v2, v62, v118, vcc
	v_mul_f64 v[12:13], v[116:117], v[2:3]
	v_mul_f64 v[4:5], v[112:113], v[2:3]
	v_fma_f64 v[36:37], v[116:117], v[2:3], -v[12:13]
	v_add_f64 v[50:51], v[4:5], v[36:37]
	v_add_f64 v[52:53], v[12:13], v[50:51]
	v_ldexp_f64 v[116:117], v[52:53], -2
	v_fract_f64_e32 v[118:119], v[116:117]
	v_cmp_neq_f64_e64 vcc, |v[116:117]|, s[46:47]
	v_cndmask_b32_e32 v117, 0, v119, vcc
	v_cndmask_b32_e32 v116, 0, v118, vcc
	v_add_f64 v[118:119], v[50:51], -v[4:5]
	v_add_f64 v[36:37], v[36:37], -v[118:119]
	;; [unrolled: 1-line block ×4, first 2 shown]
	v_fma_f64 v[4:5], v[112:113], v[2:3], -v[4:5]
	v_mul_f64 v[112:113], v[110:111], v[2:3]
	v_add_f64 v[36:37], v[36:37], v[118:119]
	v_add_f64 v[118:119], v[112:113], v[4:5]
	;; [unrolled: 1-line block ×3, first 2 shown]
	v_add_f64 v[12:13], v[52:53], -v[12:13]
	v_add_f64 v[52:53], v[120:121], -v[118:119]
	;; [unrolled: 1-line block ×5, first 2 shown]
	v_add_f64 v[36:37], v[36:37], v[52:53]
	v_add_f64 v[52:53], v[118:119], -v[112:113]
	v_add_f64 v[4:5], v[4:5], -v[52:53]
	;; [unrolled: 1-line block ×5, first 2 shown]
	v_add_f64 v[50:51], v[12:13], v[120:121]
	v_add_f64 v[4:5], v[4:5], v[52:53]
	v_add_f64 v[12:13], v[50:51], -v[12:13]
	v_add_f64 v[4:5], v[4:5], v[36:37]
	v_fma_f64 v[2:3], v[110:111], v[2:3], -v[112:113]
	v_add_f64 v[12:13], v[120:121], -v[12:13]
	v_add_f64 v[2:3], v[2:3], v[4:5]
	v_ldexp_f64 v[4:5], v[116:117], 2
	v_add_f64 v[2:3], v[12:13], v[2:3]
	v_add_f64 v[12:13], v[50:51], v[4:5]
	v_cmp_gt_f64_e32 vcc, 0, v[12:13]
	v_mov_b32_e32 v12, 0x40100000
	v_cndmask_b32_e32 v21, 0, v12, vcc
	v_add_f64 v[4:5], v[4:5], v[20:21]
	v_add_f64 v[12:13], v[50:51], v[4:5]
	v_cvt_i32_f64_e32 v18, v[12:13]
	v_cvt_f64_i32_e32 v[12:13], v18
	v_add_f64 v[4:5], v[4:5], -v[12:13]
	v_add_f64 v[12:13], v[50:51], v[4:5]
	v_add_f64 v[4:5], v[12:13], -v[4:5]
	v_cmp_le_f64_e32 vcc, 0.5, v[12:13]
	v_add_f64 v[4:5], v[50:51], -v[4:5]
	v_cndmask_b32_e32 v21, 0, v126, vcc
	v_add_f64 v[2:3], v[2:3], v[4:5]
	v_add_f64 v[4:5], v[12:13], -v[20:21]
	v_add_f64 v[12:13], v[4:5], v[2:3]
	v_add_f64 v[4:5], v[12:13], -v[4:5]
	s_mov_b32 s16, s14
	v_add_f64 v[2:3], v[2:3], -v[4:5]
	v_mul_f64 v[4:5], v[12:13], s[16:17]
	v_fma_f64 v[36:37], v[12:13], s[16:17], -v[4:5]
	s_mov_b32 s79, s77
	v_fmac_f64_e32 v[36:37], s[78:79], v[12:13]
	v_fmac_f64_e32 v[36:37], s[16:17], v[2:3]
	v_add_f64 v[50:51], v[4:5], v[36:37]
	v_add_f64 v[2:3], v[50:51], -v[4:5]
	v_addc_co_u32_e64 v33, s[2:3], 0, v18, vcc
	v_add_f64 v[52:53], v[36:37], -v[2:3]
	s_or_saveexec_b64 s[2:3], s[4:5]
	v_add_f64 v[112:113], v[82:83], v[82:83]
	s_xor_b64 exec, exec, s[2:3]
	s_cbranch_execnz .LBB1_132
	s_branch .LBB1_133
.LBB1_131:                              ;   in Loop: Header=BB1_93 Depth=3
	s_or_saveexec_b64 s[2:3], s[4:5]
	v_add_f64 v[112:113], v[82:83], v[82:83]
	s_xor_b64 exec, exec, s[2:3]
	s_cbranch_execz .LBB1_133
.LBB1_132:                              ;   in Loop: Header=BB1_93 Depth=3
	v_mul_f64 v[2:3], |v[62:63]|, s[80:81]
	v_rndne_f64_e32 v[2:3], v[2:3]
	v_fma_f64 v[4:5], v[2:3], s[14:15], |v[62:63]|
	v_mul_f64 v[36:37], v[2:3], s[82:83]
	v_add_f64 v[52:53], v[4:5], v[36:37]
	v_fma_f64 v[12:13], s[82:83], v[2:3], v[4:5]
	s_mov_b32 s76, s82
	v_add_f64 v[4:5], v[4:5], -v[52:53]
	v_fma_f64 v[50:51], s[76:77], v[2:3], v[36:37]
	v_add_f64 v[4:5], v[4:5], v[36:37]
	v_add_f64 v[36:37], v[52:53], -v[12:13]
	v_add_f64 v[4:5], v[36:37], v[4:5]
	v_add_f64 v[4:5], v[4:5], -v[50:51]
	v_fmac_f64_e32 v[4:5], s[88:89], v[2:3]
	v_add_f64 v[50:51], v[12:13], v[4:5]
	v_add_f64 v[12:13], v[50:51], -v[12:13]
	v_add_f64 v[52:53], v[4:5], -v[12:13]
	v_cvt_i32_f64_e32 v33, v[2:3]
.LBB1_133:                              ;   in Loop: Header=BB1_93 Depth=3
	s_or_b64 exec, exec, s[2:3]
	buffer_load_dword v96, off, s[96:99], 0 offset:24 ; 4-byte Folded Reload
	buffer_load_dword v97, off, s[96:99], 0 offset:28 ; 4-byte Folded Reload
	v_add_f64 v[2:3], v[80:81], -v[86:87]
	v_and_b32_e32 v21, 1, v31
	v_add_f64 v[58:59], v[6:7], v[58:59]
	v_mul_f64 v[58:59], v[112:113], v[58:59]
	s_mov_b32 s74, s58
	s_mov_b32 s54, s48
	s_waitcnt vmcnt(0)
	v_mul_f64 v[2:3], v[96:97], v[2:3]
	v_div_scale_f64 v[4:5], s[2:3], v[64:65], v[64:65], v[2:3]
	v_rcp_f64_e32 v[12:13], v[4:5]
	v_fma_f64 v[36:37], -v[4:5], v[12:13], 1.0
	v_fmac_f64_e32 v[12:13], v[12:13], v[36:37]
	v_fma_f64 v[36:37], -v[4:5], v[12:13], 1.0
	v_fmac_f64_e32 v[12:13], v[12:13], v[36:37]
	v_div_scale_f64 v[36:37], vcc, v[2:3], v[64:65], v[2:3]
	v_mul_f64 v[80:81], v[36:37], v[12:13]
	v_fma_f64 v[4:5], -v[4:5], v[80:81], v[36:37]
	s_nop 1
	v_div_fmas_f64 v[4:5], v[4:5], v[12:13], v[80:81]
	v_mul_f64 v[80:81], v[56:57], v[66:67]
	v_div_fixup_f64 v[64:65], v[4:5], v[64:65], v[2:3]
	v_div_scale_f64 v[2:3], s[2:3], v[80:81], v[80:81], 1.0
	v_rcp_f64_e32 v[4:5], v[2:3]
	v_fmac_f64_e32 v[64:65], s[12:13], v[86:87]
	v_fma_f64 v[12:13], -v[2:3], v[4:5], 1.0
	v_fmac_f64_e32 v[4:5], v[4:5], v[12:13]
	v_fma_f64 v[12:13], -v[2:3], v[4:5], 1.0
	v_fmac_f64_e32 v[4:5], v[4:5], v[12:13]
	v_div_scale_f64 v[12:13], vcc, 1.0, v[80:81], 1.0
	v_mul_f64 v[36:37], v[12:13], v[4:5]
	v_fma_f64 v[2:3], -v[2:3], v[36:37], v[12:13]
	s_nop 1
	v_div_fmas_f64 v[110:111], v[2:3], v[4:5], v[36:37]
	v_add_f64 v[2:3], v[66:67], -v[112:113]
	v_mul_f64 v[2:3], v[96:97], v[2:3]
	v_div_scale_f64 v[4:5], s[2:3], v[48:49], v[48:49], v[2:3]
	v_rcp_f64_e32 v[12:13], v[4:5]
	s_mov_b32 s2, 0xb42fdfa7
	s_mov_b32 s3, 0xbe5ae600
	v_fma_f64 v[36:37], -v[4:5], v[12:13], 1.0
	v_fmac_f64_e32 v[12:13], v[12:13], v[36:37]
	v_fma_f64 v[36:37], -v[4:5], v[12:13], 1.0
	v_fmac_f64_e32 v[12:13], v[12:13], v[36:37]
	v_div_scale_f64 v[36:37], vcc, v[2:3], v[48:49], v[2:3]
	v_mul_f64 v[56:57], v[36:37], v[12:13]
	v_fma_f64 v[4:5], -v[4:5], v[56:57], v[36:37]
	v_mul_f64 v[36:37], v[88:89], 0.5
	s_nop 0
	v_div_fmas_f64 v[4:5], v[4:5], v[12:13], v[56:57]
	v_div_fixup_f64 v[48:49], v[4:5], v[48:49], v[2:3]
	v_mul_f64 v[2:3], v[68:69], v[68:69]
	v_pk_mov_b32 v[56:57], s[2:3], s[2:3] op_sel:[0,1]
	v_fma_f64 v[4:5], s[38:39], v[2:3], v[56:57]
	v_fma_f64 v[4:5], v[2:3], v[4:5], s[40:41]
	;; [unrolled: 1-line block ×4, first 2 shown]
	v_mul_f64 v[12:13], v[68:69], -v[2:3]
	v_fmac_f64_e32 v[36:37], v[12:13], v[4:5]
	v_mul_f64 v[4:5], v[2:3], 0.5
	v_add_f64 v[116:117], -v[4:5], 1.0
	v_add_f64 v[66:67], -v[116:117], 1.0
	s_mov_b32 s2, 0x9037ab78
	v_add_f64 v[4:5], v[66:67], -v[4:5]
	s_mov_b32 s3, 0x3e21eeb6
	v_fma_f64 v[36:37], v[2:3], v[36:37], -v[88:89]
	v_fma_f64 v[4:5], v[68:69], -v[88:89], v[4:5]
	v_pk_mov_b32 v[88:89], s[2:3], s[2:3] op_sel:[0,1]
	v_fma_f64 v[66:67], s[22:23], v[2:3], v[88:89]
	v_fma_f64 v[66:67], v[2:3], v[66:67], s[24:25]
	;; [unrolled: 1-line block ×5, first 2 shown]
	v_mul_f64 v[2:3], v[2:3], v[2:3]
	v_fmac_f64_e32 v[4:5], v[2:3], v[66:67]
	v_fma_f64 v[2:3], -2.0, v[84:85], v[46:47]
	v_add_f64 v[66:67], v[6:7], v[2:3]
	v_mul_f64 v[2:3], v[66:67], v[54:55]
	v_div_scale_f64 v[118:119], s[2:3], v[2:3], v[2:3], 1.0
	v_rcp_f64_e32 v[120:121], v[118:119]
	v_fmac_f64_e32 v[36:37], s[34:35], v[12:13]
	v_add_f64 v[12:13], v[68:69], -v[36:37]
	v_add_f64 v[4:5], v[116:117], v[4:5]
	v_fma_f64 v[24:25], -v[118:119], v[120:121], 1.0
	v_fmac_f64_e32 v[120:121], v[120:121], v[24:25]
	v_fma_f64 v[24:25], -v[118:119], v[120:121], 1.0
	v_fmac_f64_e32 v[120:121], v[120:121], v[24:25]
	v_div_scale_f64 v[24:25], vcc, 1.0, v[2:3], 1.0
	v_mul_f64 v[18:19], v[24:25], v[120:121]
	v_fma_f64 v[24:25], -v[118:119], v[18:19], v[24:25]
	v_fmac_f64_e32 v[54:55], -2.0, v[84:85]
	s_nop 0
	v_div_fmas_f64 v[18:19], v[24:25], v[120:121], v[18:19]
	v_cmp_eq_u32_e32 vcc, 0, v21
	v_cndmask_b32_e32 v4, v4, v12, vcc
	v_lshlrev_b32_e32 v12, 30, v31
	v_xor_b32_e32 v12, v12, v91
	v_cndmask_b32_e32 v5, v5, v13, vcc
	v_and_b32_e32 v12, 0x80000000, v12
	v_xor_b32_e32 v5, v5, v12
	v_mov_b32_e32 v120, 0x7ff80000
	v_cndmask_b32_e64 v68, 0, v4, s[0:1]
	v_cndmask_b32_e64 v69, v120, v5, s[0:1]
	v_mul_f64 v[4:5], v[68:69], v[68:69]
	v_cmp_gt_f64_e64 s[0:1], s[90:91], v[68:69]
	v_mov_b32_e32 v121, 0x3c9cd2b2
	v_mov_b32_e32 v31, 0x97d889bc
	v_cndmask_b32_e64 v5, v5, v121, s[0:1]
	v_cndmask_b32_e64 v4, v4, v31, s[0:1]
	v_mul_f64 v[12:13], v[96:97], v[54:55]
	v_div_scale_f64 v[24:25], s[2:3], v[4:5], v[4:5], v[12:13]
	v_rcp_f64_e32 v[36:37], v[24:25]
	v_fmac_f64_e32 v[48:49], s[12:13], v[112:113]
	v_div_fixup_f64 v[2:3], v[18:19], v[2:3], 1.0
	v_add_f64 v[46:47], v[6:7], v[46:47]
	v_fma_f64 v[54:55], -v[24:25], v[36:37], 1.0
	v_fmac_f64_e32 v[36:37], v[36:37], v[54:55]
	v_fma_f64 v[54:55], -v[24:25], v[36:37], 1.0
	v_fmac_f64_e32 v[36:37], v[36:37], v[54:55]
	v_div_scale_f64 v[54:55], vcc, v[12:13], v[4:5], v[12:13]
	v_mul_f64 v[90:91], v[54:55], v[36:37]
	v_fma_f64 v[24:25], -v[24:25], v[90:91], v[54:55]
	v_pk_mov_b32 v[118:119], v[92:93], v[92:93] op_sel:[0,1]
	s_nop 0
	v_div_fmas_f64 v[24:25], v[24:25], v[36:37], v[90:91]
	v_div_fixup_f64 v[12:13], v[24:25], v[4:5], v[12:13]
	v_mul_f64 v[4:5], v[4:5], v[4:5]
	v_div_scale_f64 v[24:25], s[2:3], v[4:5], v[4:5], v[14:15]
	v_rcp_f64_e32 v[36:37], v[24:25]
	v_and_b32_e32 v21, 1, v32
	v_fma_f64 v[54:55], -v[24:25], v[36:37], 1.0
	v_fmac_f64_e32 v[36:37], v[36:37], v[54:55]
	v_fma_f64 v[54:55], -v[24:25], v[36:37], 1.0
	v_fmac_f64_e32 v[36:37], v[36:37], v[54:55]
	v_div_scale_f64 v[54:55], vcc, v[14:15], v[4:5], v[14:15]
	v_mul_f64 v[90:91], v[54:55], v[36:37]
	v_fma_f64 v[24:25], -v[24:25], v[90:91], v[54:55]
	v_mul_f64 v[54:55], v[40:41], -v[64:65]
	s_nop 0
	v_div_fmas_f64 v[24:25], v[24:25], v[36:37], v[90:91]
	v_mul_f64 v[36:37], s[12:13], v[86:87]
	v_fma_f64 v[36:37], -v[96:97], v[36:37], v[70:71]
	v_mul_f64 v[70:71], s[12:13], v[112:113]
	buffer_load_dword v112, off, s[96:99], 0 ; 4-byte Folded Reload
	buffer_load_dword v113, off, s[96:99], 0 offset:4 ; 4-byte Folded Reload
	buffer_load_dword v116, off, s[96:99], 0 offset:8 ; 4-byte Folded Reload
	;; [unrolled: 1-line block ×3, first 2 shown]
	v_add_f64 v[64:65], v[108:109], v[108:109]
	v_fma_f64 v[36:37], v[36:37], v[40:41], 1.0
	v_div_fixup_f64 v[40:41], v[110:111], v[80:81], 1.0
	v_mul_f64 v[64:65], v[108:109], v[64:65]
	v_add_f64 v[80:81], v[82:83], -1.0
	v_fma_f64 v[70:71], -v[96:97], v[70:71], v[58:59]
	v_mul_f64 v[64:65], v[80:81], v[64:65]
	v_mul_f64 v[60:61], v[64:65], v[60:61]
	v_fma_f64 v[64:65], s[94:95], v[0:1], v[26:27]
	v_fmac_f64_e32 v[64:65], 0x40040000, v[78:79]
	v_fmac_f64_e32 v[64:65], s[58:59], v[10:11]
	v_mul_f64 v[108:109], v[40:41], -v[48:49]
	v_mul_f64 v[48:49], v[114:115], s[68:69]
	v_mul_f64 v[90:91], v[122:123], v[54:55]
	v_mov_b32_e32 v110, 0x3e45798e
	v_mul_f64 v[82:83], v[124:125], s[68:69]
	v_fma_f64 v[86:87], v[22:23], s[70:71], -v[82:83]
	v_mul_f64 v[82:83], v[122:123], -v[36:37]
	v_div_fixup_f64 v[4:5], v[24:25], v[4:5], v[14:15]
	v_mul_f64 v[24:25], v[0:1], s[68:69]
	v_add_f64 v[4:5], v[4:5], -v[6:7]
	v_fmac_f64_e32 v[86:87], s[50:51], v[76:77]
	v_cmp_eq_u32_e32 vcc, 0, v21
	v_mov_b32_e32 v111, 0x97d889bc
	s_waitcnt vmcnt(2)
	v_fma_f64 v[58:59], -v[112:113], v[80:81], v[58:59]
	s_waitcnt vmcnt(0)
	v_add_f64 v[58:59], v[58:59], -v[116:117]
	v_fma_f64 v[58:59], v[58:59], v[40:41], -v[60:61]
	v_mul_f64 v[58:59], v[122:123], -v[58:59]
	v_fmac_f64_e32 v[64:65], s[74:75], v[58:59]
	v_add_f64 v[60:61], v[64:65], v[64:65]
	v_mul_f64 v[18:19], v[66:67], -v[64:65]
	v_mul_f64 v[60:61], v[64:65], v[60:61]
	v_add_f64 v[64:65], v[84:85], v[84:85]
	v_fmac_f64_e32 v[12:13], s[12:13], v[64:65]
	v_mul_f64 v[46:47], v[64:65], v[46:47]
	v_mul_f64 v[64:65], s[12:13], v[64:65]
	v_add_f64 v[66:67], v[84:85], -1.0
	v_fma_f64 v[64:65], -v[96:97], v[64:65], v[46:47]
	v_fma_f64 v[46:47], -v[112:113], v[66:67], v[46:47]
	v_mul_f64 v[66:67], v[66:67], v[60:61]
	buffer_load_dword v60, off, s[96:99], 0 offset:40 ; 4-byte Folded Reload
	buffer_load_dword v61, off, s[96:99], 0 offset:44 ; 4-byte Folded Reload
	v_add_f64 v[46:47], v[46:47], -v[116:117]
	v_mul_f64 v[66:67], v[66:67], v[38:39]
	v_fma_f64 v[40:41], v[70:71], v[40:41], 1.0
	v_fma_f64 v[70:71], v[46:47], v[2:3], -v[66:67]
	buffer_load_dword v66, off, s[96:99], 0 offset:48 ; 4-byte Folded Reload
	buffer_load_dword v67, off, s[96:99], 0 offset:52 ; 4-byte Folded Reload
	v_fma_f64 v[84:85], v[98:99], s[70:71], -v[48:49]
	v_mul_f64 v[12:13], v[2:3], v[12:13]
	v_fmac_f64_e32 v[84:85], s[50:51], v[16:17]
	v_fma_f64 v[2:3], v[64:65], v[2:3], 1.0
	v_cndmask_b32_e64 v65, v69, v110, s[0:1]
	v_cndmask_b32_e64 v64, v68, v30, s[0:1]
	v_fmac_f64_e32 v[84:85], s[48:49], v[8:9]
	v_mul_f64 v[8:9], v[122:123], v[12:13]
	v_mul_f64 v[44:45], -v[64:65], v[44:45]
	v_mul_f64 v[2:3], v[122:123], v[2:3]
	v_mul_f64 v[4:5], v[4:5], v[44:45]
	v_mul_f64 v[18:19], v[18:19], v[38:39]
	v_mul_f64 v[4:5], v[4:5], v[38:39]
	v_fma_f64 v[38:39], s[66:67], v[124:125], v[118:119]
	v_mul_f64 v[44:45], v[34:35], s[68:69]
	v_fmac_f64_e32 v[38:39], 0x3fd5e000, v[102:103]
	v_fma_f64 v[44:45], v[104:105], s[70:71], -v[44:45]
	v_fmac_f64_e32 v[38:39], s[56:57], v[22:23]
	v_fmac_f64_e32 v[44:45], s[50:51], v[74:75]
	v_mul_f64 v[18:19], v[122:123], v[18:19]
	v_mul_f64 v[4:5], v[122:123], v[4:5]
	v_fmac_f64_e32 v[38:39], s[60:61], v[76:77]
	v_fmac_f64_e32 v[86:87], s[48:49], v[18:19]
	;; [unrolled: 1-line block ×4, first 2 shown]
	v_mul_f64 v[18:19], v[42:43], 0.5
	s_waitcnt vmcnt(2)
	v_mul_f64 v[60:61], v[60:61], v[122:123]
	v_mul_f64 v[46:47], v[60:61], s[68:69]
	v_fma_f64 v[54:55], v[90:91], s[70:71], -v[46:47]
	v_fma_f64 v[46:47], v[10:11], s[70:71], -v[24:25]
	v_fmac_f64_e32 v[46:47], s[50:51], v[58:59]
	s_waitcnt vmcnt(0)
	v_mul_f64 v[80:81], v[122:123], -v[66:67]
	v_mul_f64 v[66:67], v[122:123], v[108:109]
	v_fmac_f64_e32 v[54:55], s[50:51], v[66:67]
	v_mul_f64 v[64:65], v[80:81], s[68:69]
	v_fmac_f64_e32 v[54:55], s[54:55], v[8:9]
	v_fma_f64 v[8:9], s[66:67], v[0:1], v[26:27]
	v_fma_f64 v[48:49], v[82:83], s[70:71], -v[64:65]
	v_mul_f64 v[64:65], v[122:123], -v[40:41]
	v_fmac_f64_e32 v[8:9], 0x3fd5e000, v[78:79]
	v_fmac_f64_e32 v[48:49], s[50:51], v[64:65]
	;; [unrolled: 1-line block ×4, first 2 shown]
	v_mul_f64 v[2:3], v[122:123], -v[70:71]
	v_fmac_f64_e32 v[8:9], s[60:61], v[58:59]
	v_fmac_f64_e32 v[46:47], s[48:49], v[2:3]
	v_fma_f64 v[40:41], s[66:67], v[34:35], v[28:29]
	v_fmac_f64_e32 v[8:9], 0x3fafa000, v[2:3]
	v_mul_f64 v[2:3], v[72:73], v[72:73]
	v_fmac_f64_e32 v[40:41], 0x3fd5e000, v[106:107]
	v_fma_f64 v[12:13], s[38:39], v[2:3], v[56:57]
	v_fmac_f64_e32 v[40:41], s[56:57], v[104:105]
	v_fma_f64 v[12:13], v[2:3], v[12:13], s[40:41]
	;; [unrolled: 2-line block ×3, first 2 shown]
	v_fmac_f64_e32 v[40:41], 0x3fafa000, v[4:5]
	v_mul_f64 v[4:5], v[72:73], -v[2:3]
	v_fma_f64 v[12:13], v[2:3], v[12:13], s[44:45]
	v_fmac_f64_e32 v[18:19], v[4:5], v[12:13]
	v_fma_f64 v[12:13], v[2:3], v[18:19], -v[42:43]
	v_fma_f64 v[36:37], s[22:23], v[2:3], v[88:89]
	v_fmac_f64_e32 v[12:13], s[34:35], v[4:5]
	v_fma_f64 v[36:37], v[2:3], v[36:37], s[24:25]
	v_add_f64 v[4:5], v[72:73], -v[12:13]
	v_mul_f64 v[12:13], v[2:3], 0.5
	v_fma_f64 v[36:37], v[2:3], v[36:37], s[26:27]
	v_add_f64 v[18:19], -v[12:13], 1.0
	v_fma_f64 v[36:37], v[2:3], v[36:37], s[28:29]
	v_mul_f64 v[24:25], v[2:3], v[2:3]
	v_fma_f64 v[2:3], v[2:3], v[36:37], s[30:31]
	v_add_f64 v[36:37], -v[18:19], 1.0
	v_add_f64 v[12:13], v[36:37], -v[12:13]
	v_fma_f64 v[12:13], v[72:73], -v[42:43], v[12:13]
	v_fmac_f64_e32 v[12:13], v[24:25], v[2:3]
	v_add_f64 v[2:3], v[18:19], v[12:13]
	v_cndmask_b32_e32 v2, v2, v4, vcc
	v_lshlrev_b32_e32 v4, 30, v32
	v_xor_b32_e32 v4, v4, v63
	v_cndmask_b32_e32 v3, v3, v5, vcc
	v_and_b32_e32 v4, 0x80000000, v4
	v_xor_b32_e32 v3, v3, v4
	v_cmp_class_f64_e64 vcc, v[62:63], s33
	v_cndmask_b32_e32 v42, 0, v2, vcc
	v_cndmask_b32_e32 v43, v120, v3, vcc
	v_mul_f64 v[2:3], v[50:51], v[50:51]
	v_mul_f64 v[4:5], v[2:3], 0.5
	v_fma_f64 v[24:25], s[22:23], v[2:3], v[88:89]
	v_add_f64 v[12:13], -v[4:5], 1.0
	v_fma_f64 v[24:25], v[2:3], v[24:25], s[24:25]
	v_add_f64 v[18:19], -v[12:13], 1.0
	v_fma_f64 v[24:25], v[2:3], v[24:25], s[26:27]
	v_add_f64 v[4:5], v[18:19], -v[4:5]
	v_fma_f64 v[24:25], v[2:3], v[24:25], s[28:29]
	v_mul_f64 v[18:19], v[2:3], v[2:3]
	v_fma_f64 v[24:25], v[2:3], v[24:25], s[30:31]
	v_fma_f64 v[4:5], v[50:51], -v[52:53], v[4:5]
	v_fmac_f64_e32 v[4:5], v[18:19], v[24:25]
	v_add_f64 v[4:5], v[12:13], v[4:5]
	v_fma_f64 v[12:13], s[38:39], v[2:3], v[56:57]
	v_fma_f64 v[12:13], v[2:3], v[12:13], s[40:41]
	;; [unrolled: 1-line block ×4, first 2 shown]
	v_mul_f64 v[18:19], v[50:51], -v[2:3]
	v_mul_f64 v[24:25], v[52:53], 0.5
	v_fmac_f64_e32 v[24:25], v[18:19], v[12:13]
	v_fma_f64 v[2:3], v[2:3], v[24:25], -v[52:53]
	v_fmac_f64_e32 v[2:3], s[34:35], v[18:19]
	v_and_b32_e32 v12, 1, v33
	v_add_f64 v[2:3], v[50:51], -v[2:3]
	v_cmp_eq_u32_e64 s[0:1], 0, v12
	v_xor_b32_e32 v3, 0x80000000, v3
	v_cndmask_b32_e64 v2, v2, v4, s[0:1]
	v_lshlrev_b32_e32 v4, 30, v33
	v_cndmask_b32_e64 v3, v3, v5, s[0:1]
	v_and_b32_e32 v4, 0x80000000, v4
	v_xor_b32_e32 v3, v3, v4
	v_cndmask_b32_e32 v2, 0, v2, vcc
	v_cndmask_b32_e32 v3, v120, v3, vcc
	v_mul_f64 v[12:13], v[2:3], v[2:3]
	v_add_f64 v[18:19], v[38:39], v[38:39]
	v_mul_f64 v[12:13], v[6:7], v[12:13]
	v_fma_f64 v[24:25], v[38:39], v[38:39], -v[18:19]
	v_fmac_f64_e32 v[12:13], v[38:39], v[38:39]
	v_add_f64 v[24:25], v[6:7], v[24:25]
	v_mul_f64 v[32:33], v[24:25], v[12:13]
	v_div_scale_f64 v[36:37], s[0:1], v[32:33], v[32:33], 1.0
	v_rcp_f64_e32 v[50:51], v[36:37]
	v_mul_f64 v[4:5], v[42:43], v[42:43]
	v_cmp_gt_f64_e64 s[0:1], s[90:91], v[42:43]
	v_cndmask_b32_e64 v5, v5, v121, s[0:1]
	v_fma_f64 v[52:53], -v[36:37], v[50:51], 1.0
	v_fmac_f64_e32 v[50:51], v[50:51], v[52:53]
	v_fma_f64 v[52:53], -v[36:37], v[50:51], 1.0
	v_fmac_f64_e32 v[50:51], v[50:51], v[52:53]
	v_div_scale_f64 v[52:53], vcc, 1.0, v[32:33], 1.0
	v_mul_f64 v[56:57], v[52:53], v[50:51]
	v_fma_f64 v[36:37], -v[36:37], v[56:57], v[52:53]
	v_div_scale_f64 v[52:53], s[2:3], v[12:13], v[12:13], 1.0
	v_rcp_f64_e32 v[62:63], v[52:53]
	v_div_fmas_f64 v[36:37], v[36:37], v[50:51], v[56:57]
	v_div_fixup_f64 v[32:33], v[36:37], v[32:33], 1.0
	v_cndmask_b32_e64 v4, v4, v31, s[0:1]
	v_fma_f64 v[36:37], -v[52:53], v[62:63], 1.0
	v_fmac_f64_e32 v[62:63], v[62:63], v[36:37]
	v_fma_f64 v[36:37], -v[52:53], v[62:63], 1.0
	v_fmac_f64_e32 v[62:63], v[62:63], v[36:37]
	v_div_scale_f64 v[36:37], vcc, 1.0, v[12:13], 1.0
	v_mul_f64 v[50:51], v[36:37], v[62:63]
	v_fma_f64 v[36:37], -v[52:53], v[50:51], v[36:37]
	v_mul_f64 v[24:25], v[24:25], -v[8:9]
	s_nop 0
	v_div_fmas_f64 v[36:37], v[36:37], v[62:63], v[50:51]
	v_div_fixup_f64 v[36:37], v[36:37], v[12:13], 1.0
	v_fmac_f64_e32 v[12:13], -2.0, v[38:39]
	v_mul_f64 v[12:13], v[96:97], v[12:13]
	v_div_scale_f64 v[50:51], s[2:3], v[4:5], v[4:5], v[12:13]
	v_rcp_f64_e32 v[52:53], v[50:51]
	v_mul_f64 v[56:57], s[12:13], v[18:19]
	v_mul_f64 v[24:25], v[24:25], v[36:37]
	;; [unrolled: 1-line block ×3, first 2 shown]
	v_fma_f64 v[62:63], -v[50:51], v[52:53], 1.0
	v_fmac_f64_e32 v[52:53], v[52:53], v[62:63]
	v_fma_f64 v[62:63], -v[50:51], v[52:53], 1.0
	v_fmac_f64_e32 v[52:53], v[52:53], v[62:63]
	v_div_scale_f64 v[62:63], vcc, v[12:13], v[4:5], v[12:13]
	v_mul_f64 v[68:69], v[62:63], v[52:53]
	v_fma_f64 v[50:51], -v[50:51], v[68:69], v[62:63]
	v_fmac_f64_e32 v[86:87], s[18:19], v[70:71]
	s_nop 0
	v_div_fmas_f64 v[50:51], v[50:51], v[52:53], v[68:69]
	v_div_fixup_f64 v[12:13], v[50:51], v[4:5], v[12:13]
	v_fma_f64 v[50:51], v[38:39], v[38:39], v[6:7]
	v_add_f64 v[52:53], v[8:9], v[8:9]
	v_fmac_f64_e32 v[12:13], s[12:13], v[18:19]
	v_mul_f64 v[18:19], v[18:19], v[50:51]
	v_add_f64 v[38:39], v[38:39], -1.0
	v_mul_f64 v[8:9], v[8:9], v[52:53]
	v_fma_f64 v[50:51], -v[96:97], v[56:57], v[18:19]
	v_fma_f64 v[18:19], -v[112:113], v[38:39], v[18:19]
	v_mul_f64 v[8:9], v[38:39], v[8:9]
	v_add_f64 v[18:19], v[18:19], -v[116:117]
	v_mul_f64 v[8:9], v[8:9], v[36:37]
	v_mul_f64 v[4:5], v[4:5], v[4:5]
	v_fma_f64 v[8:9], v[18:19], v[32:33], -v[8:9]
	v_div_scale_f64 v[18:19], s[2:3], v[4:5], v[4:5], v[14:15]
	v_mul_f64 v[12:13], v[32:33], -v[12:13]
	v_fma_f64 v[50:51], v[50:51], v[32:33], 1.0
	v_rcp_f64_e32 v[32:33], v[18:19]
	v_cndmask_b32_e64 v39, v43, v110, s[0:1]
	v_cndmask_b32_e64 v38, v42, v30, s[0:1]
	v_mul_f64 v[2:3], -v[38:39], v[2:3]
	v_fma_f64 v[38:39], -v[18:19], v[32:33], 1.0
	v_fmac_f64_e32 v[32:33], v[32:33], v[38:39]
	v_fma_f64 v[38:39], -v[18:19], v[32:33], 1.0
	v_fmac_f64_e32 v[32:33], v[32:33], v[38:39]
	v_div_scale_f64 v[38:39], vcc, v[14:15], v[4:5], v[14:15]
	v_mul_f64 v[42:43], v[38:39], v[32:33]
	v_fma_f64 v[18:19], -v[18:19], v[42:43], v[38:39]
	v_mul_f64 v[62:63], v[122:123], v[12:13]
	s_nop 0
	v_div_fmas_f64 v[18:19], v[18:19], v[32:33], v[42:43]
	buffer_load_dword v32, off, s[96:99], 0 offset:72 ; 4-byte Folded Reload
	buffer_load_dword v33, off, s[96:99], 0 offset:76 ; 4-byte Folded Reload
	v_div_fixup_f64 v[4:5], v[18:19], v[4:5], v[14:15]
	v_add_f64 v[4:5], v[4:5], -v[6:7]
	v_mul_f64 v[2:3], v[4:5], v[2:3]
	v_mul_f64 v[40:41], v[36:37], -v[40:41]
	v_mul_f64 v[2:3], v[2:3], v[36:37]
	buffer_load_dword v36, off, s[96:99], 0 offset:80 ; 4-byte Folded Reload
	buffer_load_dword v37, off, s[96:99], 0 offset:84 ; 4-byte Folded Reload
	v_mul_f64 v[38:39], v[122:123], -v[8:9]
	v_mul_f64 v[8:9], v[122:123], v[2:3]
	v_mul_f64 v[68:69], v[122:123], v[40:41]
	v_fmac_f64_e32 v[84:85], s[18:19], v[68:69]
	v_fmac_f64_e32 v[54:55], s[18:19], v[62:63]
	v_mul_f64 v[40:41], v[122:123], -v[50:51]
	v_fmac_f64_e32 v[48:49], s[18:19], v[40:41]
	v_fmac_f64_e32 v[46:47], s[18:19], v[38:39]
	;; [unrolled: 1-line block ×3, first 2 shown]
	v_mov_b32_e32 v96, 0x3e45798e
	s_mov_b64 s[2:3], -1
	s_waitcnt vmcnt(2)
	v_div_scale_f64 v[4:5], s[0:1], v[32:33], v[32:33], v[86:87]
	v_rcp_f64_e32 v[12:13], v[4:5]
	v_fma_f64 v[2:3], -v[4:5], v[12:13], 1.0
	v_fmac_f64_e32 v[12:13], v[12:13], v[2:3]
	v_fma_f64 v[2:3], -v[4:5], v[12:13], 1.0
	v_fmac_f64_e32 v[12:13], v[12:13], v[2:3]
	v_div_scale_f64 v[2:3], vcc, v[86:87], v[32:33], v[86:87]
	v_mul_f64 v[18:19], v[2:3], v[12:13]
	v_fma_f64 v[2:3], -v[4:5], v[18:19], v[2:3]
	s_waitcnt vmcnt(0)
	v_div_scale_f64 v[4:5], s[0:1], v[36:37], v[36:37], v[84:85]
	v_div_fmas_f64 v[2:3], v[2:3], v[12:13], v[18:19]
	v_div_fixup_f64 v[2:3], v[2:3], v[32:33], v[86:87]
	buffer_load_dword v32, off, s[96:99], 0 offset:88 ; 4-byte Folded Reload
	buffer_load_dword v33, off, s[96:99], 0 offset:92 ; 4-byte Folded Reload
	v_rcp_f64_e32 v[24:25], v[4:5]
	v_max_f64 v[2:3], |v[2:3]|, 0
	v_fma_f64 v[12:13], -v[4:5], v[24:25], 1.0
	v_fmac_f64_e32 v[24:25], v[24:25], v[12:13]
	v_fma_f64 v[12:13], -v[4:5], v[24:25], 1.0
	v_fmac_f64_e32 v[24:25], v[24:25], v[12:13]
	v_div_scale_f64 v[12:13], vcc, v[84:85], v[36:37], v[84:85]
	v_mul_f64 v[18:19], v[12:13], v[24:25]
	v_fma_f64 v[4:5], -v[4:5], v[18:19], v[12:13]
	s_waitcnt vmcnt(0)
	v_div_scale_f64 v[12:13], s[0:1], v[32:33], v[32:33], v[54:55]
	v_div_fmas_f64 v[4:5], v[4:5], v[24:25], v[18:19]
	v_rcp_f64_e32 v[18:19], v[12:13]
	v_div_fixup_f64 v[4:5], v[4:5], v[36:37], v[84:85]
	v_cmp_gt_f64_e64 vcc, |v[4:5]|, v[2:3]
	v_and_b32_e32 v21, 0x7fffffff, v5
	v_cndmask_b32_e32 v2, v2, v4, vcc
	v_fma_f64 v[4:5], -v[12:13], v[18:19], 1.0
	v_fmac_f64_e32 v[18:19], v[18:19], v[4:5]
	v_fma_f64 v[4:5], -v[12:13], v[18:19], 1.0
	v_cndmask_b32_e32 v3, v3, v21, vcc
	v_fmac_f64_e32 v[18:19], v[18:19], v[4:5]
	v_div_scale_f64 v[4:5], vcc, v[54:55], v[32:33], v[54:55]
	v_mul_f64 v[24:25], v[4:5], v[18:19]
	v_fma_f64 v[4:5], -v[12:13], v[24:25], v[4:5]
	s_nop 1
	v_div_fmas_f64 v[4:5], v[4:5], v[18:19], v[24:25]
	v_div_fixup_f64 v[4:5], v[4:5], v[32:33], v[54:55]
	buffer_load_dword v32, off, s[96:99], 0 offset:96 ; 4-byte Folded Reload
	buffer_load_dword v33, off, s[96:99], 0 offset:100 ; 4-byte Folded Reload
	v_cmp_gt_f64_e64 vcc, |v[4:5]|, v[2:3]
	v_and_b32_e32 v21, 0x7fffffff, v5
	v_cndmask_b32_e32 v2, v2, v4, vcc
	v_cndmask_b32_e32 v3, v3, v21, vcc
	s_waitcnt vmcnt(0)
	v_div_scale_f64 v[12:13], s[0:1], v[32:33], v[32:33], v[48:49]
	v_rcp_f64_e32 v[18:19], v[12:13]
	v_fma_f64 v[4:5], -v[12:13], v[18:19], 1.0
	v_fmac_f64_e32 v[18:19], v[18:19], v[4:5]
	v_fma_f64 v[4:5], -v[12:13], v[18:19], 1.0
	v_fmac_f64_e32 v[18:19], v[18:19], v[4:5]
	v_div_scale_f64 v[4:5], vcc, v[48:49], v[32:33], v[48:49]
	v_mul_f64 v[24:25], v[4:5], v[18:19]
	v_fma_f64 v[4:5], -v[12:13], v[24:25], v[4:5]
	s_nop 1
	v_div_fmas_f64 v[4:5], v[4:5], v[18:19], v[24:25]
	v_div_fixup_f64 v[4:5], v[4:5], v[32:33], v[48:49]
	buffer_load_dword v32, off, s[96:99], 0 offset:104 ; 4-byte Folded Reload
	buffer_load_dword v33, off, s[96:99], 0 offset:108 ; 4-byte Folded Reload
	v_cmp_gt_f64_e64 vcc, |v[4:5]|, v[2:3]
	v_and_b32_e32 v21, 0x7fffffff, v5
	v_cndmask_b32_e32 v2, v2, v4, vcc
	v_cndmask_b32_e32 v3, v3, v21, vcc
	s_waitcnt vmcnt(0)
	v_div_scale_f64 v[12:13], s[0:1], v[32:33], v[32:33], v[46:47]
	v_rcp_f64_e32 v[18:19], v[12:13]
	v_fma_f64 v[4:5], -v[12:13], v[18:19], 1.0
	v_fmac_f64_e32 v[18:19], v[18:19], v[4:5]
	v_fma_f64 v[4:5], -v[12:13], v[18:19], 1.0
	v_fmac_f64_e32 v[18:19], v[18:19], v[4:5]
	v_div_scale_f64 v[4:5], vcc, v[46:47], v[32:33], v[46:47]
	v_mul_f64 v[24:25], v[4:5], v[18:19]
	v_fma_f64 v[4:5], -v[12:13], v[24:25], v[4:5]
	v_div_scale_f64 v[12:13], s[0:1], v[94:95], v[94:95], v[44:45]
	s_nop 0
	v_div_fmas_f64 v[4:5], v[4:5], v[18:19], v[24:25]
	v_rcp_f64_e32 v[18:19], v[12:13]
	v_div_fixup_f64 v[4:5], v[4:5], v[32:33], v[46:47]
	v_cmp_gt_f64_e64 vcc, |v[4:5]|, v[2:3]
	v_and_b32_e32 v21, 0x7fffffff, v5
	v_cndmask_b32_e32 v2, v2, v4, vcc
	v_fma_f64 v[4:5], -v[12:13], v[18:19], 1.0
	v_fmac_f64_e32 v[18:19], v[18:19], v[4:5]
	v_fma_f64 v[4:5], -v[12:13], v[18:19], 1.0
	v_cndmask_b32_e32 v3, v3, v21, vcc
	v_fmac_f64_e32 v[18:19], v[18:19], v[4:5]
	v_div_scale_f64 v[4:5], vcc, v[44:45], v[94:95], v[44:45]
	v_mul_f64 v[24:25], v[4:5], v[18:19]
	v_fma_f64 v[4:5], -v[12:13], v[24:25], v[4:5]
	s_mov_b32 s0, 0x1e900000
	s_nop 0
	v_div_fmas_f64 v[4:5], v[4:5], v[18:19], v[24:25]
	v_div_fixup_f64 v[4:5], v[4:5], v[94:95], v[44:45]
	v_and_b32_e32 v12, 0x7fffffff, v5
	v_cmp_gt_f64_e64 vcc, |v[4:5]|, v[2:3]
	v_cndmask_b32_e32 v3, v3, v12, vcc
	v_cndmask_b32_e32 v2, v2, v4, vcc
	s_mov_b32 s1, 0x42d6bcc4
	v_mul_f64 v[42:43], v[2:3], s[0:1]
	v_cmp_nge_f64_e32 vcc, 1.0, v[42:43]
                                        ; implicit-def: $vgpr44_vgpr45
	s_and_saveexec_b64 s[0:1], vcc
	s_cbranch_execz .LBB1_92
; %bb.134:                              ;   in Loop: Header=BB1_93 Depth=3
	v_readlane_b32 s2, v127, 26
	v_readlane_b32 s3, v127, 27
	s_mov_b32 s2, s62
	s_mov_b32 s5, s3
	v_mul_f64 v[2:3], v[122:123], s[2:3]
	s_mov_b32 s2, 0
	s_brev_b32 s3, 8
	v_cmp_gt_f64_e32 vcc, s[2:3], v[42:43]
	v_cndmask_b32_e64 v4, 0, 1, vcc
	v_lshlrev_b32_e32 v4, 8, v4
	v_ldexp_f64 v[4:5], v[42:43], v4
	v_rsq_f64_e32 v[12:13], v[4:5]
	v_mov_b32_e32 v21, 0xffffff80
	v_mov_b32_e32 v31, 0x260
	v_writelane_b32 v127, s4, 26
	v_mul_f64 v[18:19], v[4:5], v[12:13]
	v_mul_f64 v[12:13], v[12:13], 0.5
	v_fma_f64 v[24:25], -v[12:13], v[18:19], 0.5
	v_fmac_f64_e32 v[18:19], v[18:19], v[24:25]
	v_fma_f64 v[32:33], -v[18:19], v[18:19], v[4:5]
	v_fmac_f64_e32 v[12:13], v[12:13], v[24:25]
	v_fmac_f64_e32 v[18:19], v[32:33], v[12:13]
	v_fma_f64 v[24:25], -v[18:19], v[18:19], v[4:5]
	v_fmac_f64_e32 v[18:19], v[24:25], v[12:13]
	v_cndmask_b32_e32 v12, 0, v21, vcc
	v_ldexp_f64 v[12:13], v[18:19], v12
	v_cmp_class_f64_e32 vcc, v[4:5], v31
	v_cndmask_b32_e32 v5, v13, v5, vcc
	v_cndmask_b32_e32 v4, v12, v4, vcc
	v_cmp_gt_f64_e32 vcc, s[2:3], v[4:5]
	v_cndmask_b32_e64 v12, 0, 1, vcc
	v_lshlrev_b32_e32 v12, 8, v12
	v_ldexp_f64 v[4:5], v[4:5], v12
	v_rsq_f64_e32 v[12:13], v[4:5]
	v_writelane_b32 v127, s5, 27
	s_mov_b32 s6, 0
	s_brev_b32 s7, 8
	v_mul_f64 v[18:19], v[4:5], v[12:13]
	v_mul_f64 v[12:13], v[12:13], 0.5
	v_fma_f64 v[24:25], -v[12:13], v[18:19], 0.5
	v_fmac_f64_e32 v[18:19], v[18:19], v[24:25]
	v_fma_f64 v[32:33], -v[18:19], v[18:19], v[4:5]
	v_fmac_f64_e32 v[12:13], v[12:13], v[24:25]
	v_fmac_f64_e32 v[18:19], v[32:33], v[12:13]
	v_fma_f64 v[24:25], -v[18:19], v[18:19], v[4:5]
	v_fmac_f64_e32 v[18:19], v[24:25], v[12:13]
	v_cndmask_b32_e32 v12, 0, v21, vcc
	v_ldexp_f64 v[12:13], v[18:19], v12
	v_cmp_class_f64_e32 vcc, v[4:5], v31
	v_cndmask_b32_e32 v5, v13, v5, vcc
	v_cndmask_b32_e32 v4, v12, v4, vcc
	v_div_scale_f64 v[12:13], s[2:3], v[4:5], v[4:5], v[2:3]
	v_rcp_f64_e32 v[18:19], v[12:13]
	v_readlane_b32 s2, v127, 28
	v_readlane_b32 s3, v127, 29
	s_mov_b32 s2, s84
	v_fma_f64 v[24:25], -v[12:13], v[18:19], 1.0
	v_fmac_f64_e32 v[18:19], v[18:19], v[24:25]
	v_fma_f64 v[24:25], -v[12:13], v[18:19], 1.0
	v_fmac_f64_e32 v[18:19], v[18:19], v[24:25]
	v_div_scale_f64 v[24:25], vcc, v[2:3], v[4:5], v[2:3]
	v_mul_f64 v[32:33], v[24:25], v[18:19]
	v_fma_f64 v[12:13], -v[12:13], v[32:33], v[24:25]
	s_mov_b32 s5, s3
	s_nop 0
	v_div_fmas_f64 v[12:13], v[12:13], v[18:19], v[32:33]
	v_writelane_b32 v127, s4, 28
	v_mul_f64 v[44:45], v[122:123], s[2:3]
	v_div_fixup_f64 v[46:47], v[12:13], v[4:5], v[2:3]
	v_writelane_b32 v127, s5, 29
	v_cmp_le_f64_e32 vcc, 0, v[44:45]
	s_and_saveexec_b64 s[2:3], vcc
	s_xor_b64 s[2:3], exec, s[2:3]
	s_cbranch_execz .LBB1_138
; %bb.135:                              ;   in Loop: Header=BB1_93 Depth=3
	v_cmp_gt_f64_e32 vcc, v[46:47], v[44:45]
	s_and_saveexec_b64 s[4:5], vcc
	s_xor_b64 s[4:5], exec, s[4:5]
; %bb.136:                              ;   in Loop: Header=BB1_93 Depth=3
	v_pk_mov_b32 v[44:45], v[46:47], v[46:47] op_sel:[0,1]
; %bb.137:                              ;   in Loop: Header=BB1_93 Depth=3
	s_or_b64 exec, exec, s[4:5]
                                        ; implicit-def: $vgpr46_vgpr47
.LBB1_138:                              ;   in Loop: Header=BB1_93 Depth=3
	s_andn2_saveexec_b64 s[2:3], s[2:3]
	s_cbranch_execz .LBB1_91
; %bb.139:                              ;   in Loop: Header=BB1_93 Depth=3
	v_cmp_lt_f64_e32 vcc, v[46:47], v[44:45]
	s_and_saveexec_b64 s[4:5], vcc
	s_xor_b64 s[4:5], exec, s[4:5]
	s_cbranch_execz .LBB1_90
; %bb.140:                              ;   in Loop: Header=BB1_93 Depth=3
	v_pk_mov_b32 v[44:45], v[46:47], v[46:47] op_sel:[0,1]
	s_branch .LBB1_90
.LBB1_141:                              ;   in Loop: Header=BB1_81 Depth=2
	s_or_b64 exec, exec, s[8:9]
	s_mov_b32 s0, 0xa34ca0c3
	s_mov_b32 s1, 0x3f28c5c9
	v_cmp_nlt_f64_e32 vcc, s[0:1], v[42:43]
                                        ; implicit-def: $vgpr72_vgpr73
	s_and_saveexec_b64 s[0:1], vcc
	s_xor_b64 s[0:1], exec, s[0:1]
; %bb.142:                              ;   in Loop: Header=BB1_81 Depth=2
	s_mov_b32 s2, 0
	s_mov_b32 s3, 0x40140000
	v_mul_f64 v[72:73], v[122:123], s[2:3]
; %bb.143:                              ;   in Loop: Header=BB1_81 Depth=2
	s_or_saveexec_b64 s[8:9], s[0:1]
	v_pk_mov_b32 v[102:103], v[100:101], v[100:101] op_sel:[0,1]
	s_xor_b64 exec, exec, s[8:9]
	s_cbranch_execz .LBB1_145
; %bb.144:                              ;   in Loop: Header=BB1_81 Depth=2
	v_readlane_b32 s0, v127, 26
	v_readlane_b32 s1, v127, 27
	s_mov_b32 s3, s1
	v_writelane_b32 v127, s2, 26
	s_mov_b32 s0, s62
	v_writelane_b32 v127, s3, 27
	v_cmp_eq_f64_e32 vcc, 1.0, v[42:43]
	v_mov_b32_e32 v5, 0x3ff00000
	v_mov_b32_e32 v2, 0xbfc99999
	v_mul_f64 v[18:19], v[122:123], s[0:1]
	v_cndmask_b32_e32 v25, v2, v5, vcc
	v_mov_b32_e32 v2, 0x9999999a
	v_readlane_b32 s0, v127, 22
	v_cndmask_b32_e64 v24, v2, 0, vcc
	v_frexp_mant_f64_e32 v[2:3], v[42:43]
	v_readlane_b32 s1, v127, 23
	s_mov_b32 s0, s34
	v_cmp_gt_f64_e32 vcc, s[0:1], v[2:3]
	v_cndmask_b32_e64 v21, v5, 2.0, vcc
	v_frexp_exp_i32_f64_e32 v4, v[42:43]
	v_mul_f64 v[2:3], v[2:3], v[20:21]
	v_subbrev_co_u32_e32 v21, vcc, 0, v4, vcc
	v_add_f64 v[4:5], v[2:3], 1.0
	v_rcp_f64_e32 v[12:13], v[4:5]
	v_add_f64 v[36:37], v[4:5], -1.0
	v_add_f64 v[32:33], v[2:3], -1.0
	v_add_f64 v[2:3], v[2:3], -v[36:37]
	v_fma_f64 v[36:37], -v[4:5], v[12:13], 1.0
	v_fmac_f64_e32 v[12:13], v[36:37], v[12:13]
	v_fma_f64 v[36:37], -v[4:5], v[12:13], 1.0
	v_fmac_f64_e32 v[12:13], v[36:37], v[12:13]
	v_mul_f64 v[36:37], v[32:33], v[12:13]
	v_mul_f64 v[42:43], v[4:5], v[36:37]
	v_fma_f64 v[4:5], v[36:37], v[4:5], -v[42:43]
	v_fmac_f64_e32 v[4:5], v[36:37], v[2:3]
	v_add_f64 v[2:3], v[42:43], v[4:5]
	v_add_f64 v[44:45], v[32:33], -v[2:3]
	v_add_f64 v[42:43], v[2:3], -v[42:43]
	;; [unrolled: 1-line block ×5, first 2 shown]
	v_add_f64 v[2:3], v[4:5], v[2:3]
	v_add_f64 v[2:3], v[44:45], v[2:3]
	v_mul_f64 v[2:3], v[12:13], v[2:3]
	v_add_f64 v[4:5], v[36:37], v[2:3]
	v_add_f64 v[12:13], v[4:5], -v[36:37]
	v_add_f64 v[2:3], v[2:3], -v[12:13]
	v_mul_f64 v[12:13], v[4:5], v[4:5]
	v_fma_f64 v[32:33], v[4:5], v[4:5], -v[12:13]
	v_add_f64 v[36:37], v[2:3], v[2:3]
	v_fmac_f64_e32 v[32:33], v[4:5], v[36:37]
	v_add_f64 v[36:37], v[12:13], v[32:33]
	v_add_f64 v[12:13], v[36:37], -v[12:13]
	v_add_f64 v[12:13], v[32:33], -v[12:13]
	buffer_load_dword v32, off, s[96:99], 0 offset:256 ; 4-byte Folded Reload
	buffer_load_dword v33, off, s[96:99], 0 offset:260 ; 4-byte Folded Reload
	;; [unrolled: 1-line block ×4, first 2 shown]
	s_mov_b32 s2, 0x4222de17
	s_mov_b32 s3, 0x3fbdee67
	;; [unrolled: 1-line block ×3, first 2 shown]
	v_mul_f64 v[50:51], v[4:5], v[36:37]
	s_mov_b32 s5, 0x3c7abc9e
	v_fma_f64 v[52:53], v[36:37], v[4:5], -v[50:51]
	v_fmac_f64_e32 v[52:53], v[36:37], v[2:3]
	v_fmac_f64_e32 v[52:53], v[12:13], v[4:5]
	v_ldexp_f64 v[48:49], v[2:3], 1
	v_add_f64 v[2:3], v[50:51], v[52:53]
	v_mov_b32_e32 v126, 0x3ff00000
	s_waitcnt vmcnt(2)
	v_fmac_f64_e32 v[32:33], s[2:3], v[36:37]
	s_waitcnt vmcnt(0)
	v_fmac_f64_e32 v[42:43], v[36:37], v[32:33]
	buffer_load_dword v32, off, s[96:99], 0 offset:272 ; 4-byte Folded Reload
	buffer_load_dword v33, off, s[96:99], 0 offset:276 ; 4-byte Folded Reload
	s_mov_b32 s2, 0xfefa39ef
	s_mov_b32 s3, 0x3fe62e42
	s_waitcnt vmcnt(0)
	v_fmac_f64_e32 v[32:33], v[36:37], v[42:43]
	buffer_load_dword v42, off, s[96:99], 0 offset:280 ; 4-byte Folded Reload
	buffer_load_dword v43, off, s[96:99], 0 offset:284 ; 4-byte Folded Reload
	s_waitcnt vmcnt(0)
	v_fmac_f64_e32 v[42:43], v[36:37], v[32:33]
	buffer_load_dword v32, off, s[96:99], 0 offset:288 ; 4-byte Folded Reload
	buffer_load_dword v33, off, s[96:99], 0 offset:292 ; 4-byte Folded Reload
	s_waitcnt vmcnt(0)
	v_fmac_f64_e32 v[32:33], v[36:37], v[42:43]
	buffer_load_dword v42, off, s[96:99], 0 offset:296 ; 4-byte Folded Reload
	buffer_load_dword v43, off, s[96:99], 0 offset:300 ; 4-byte Folded Reload
	s_waitcnt vmcnt(0)
	v_fmac_f64_e32 v[42:43], v[36:37], v[32:33]
	buffer_load_dword v32, off, s[96:99], 0 offset:232 ; 4-byte Folded Reload
	buffer_load_dword v33, off, s[96:99], 0 offset:236 ; 4-byte Folded Reload
	s_waitcnt vmcnt(0)
	v_fmac_f64_e32 v[32:33], v[36:37], v[42:43]
	buffer_load_dword v42, off, s[96:99], 0 offset:240 ; 4-byte Folded Reload
	buffer_load_dword v43, off, s[96:99], 0 offset:244 ; 4-byte Folded Reload
	s_waitcnt vmcnt(0)
	v_fmac_f64_e32 v[42:43], v[36:37], v[32:33]
	v_cvt_f64_i32_e32 v[32:33], v21
	v_mul_f64 v[44:45], v[32:33], s[2:3]
	v_fma_f64 v[46:47], v[32:33], s[2:3], -v[44:45]
	v_fmac_f64_e32 v[46:47], s[4:5], v[32:33]
	v_add_f64 v[32:33], v[44:45], v[46:47]
	v_add_f64 v[44:45], v[32:33], -v[44:45]
	v_add_f64 v[44:45], v[46:47], -v[44:45]
	v_ldexp_f64 v[46:47], v[4:5], 1
	v_add_f64 v[4:5], v[2:3], -v[50:51]
	v_mul_f64 v[50:51], v[36:37], v[42:43]
	v_fma_f64 v[36:37], v[36:37], v[42:43], -v[50:51]
	v_fmac_f64_e32 v[36:37], v[12:13], v[42:43]
	s_mov_b32 s3, s1
	v_add_f64 v[12:13], v[50:51], v[36:37]
	v_writelane_b32 v127, s2, 22
	v_add_f64 v[42:43], v[12:13], -v[50:51]
	v_writelane_b32 v127, s3, 23
	v_add_f64 v[36:37], v[36:37], -v[42:43]
	v_add_f64 v[42:43], v[12:13], s[0:1]
	v_readlane_b32 s0, v127, 10
	v_readlane_b32 s1, v127, 11
	s_mov_b32 s0, s34
	s_mov_b32 s3, s1
	v_add_f64 v[50:51], v[42:43], s[0:1]
	s_mov_b32 s0, 0xd5df274d
	s_mov_b32 s1, 0x3c8543b0
	v_add_f64 v[12:13], v[12:13], -v[50:51]
	v_add_f64 v[36:37], v[36:37], s[0:1]
	v_add_f64 v[12:13], v[36:37], v[12:13]
	;; [unrolled: 1-line block ×3, first 2 shown]
	v_add_f64 v[42:43], v[42:43], -v[36:37]
	v_add_f64 v[12:13], v[12:13], v[42:43]
	v_mul_f64 v[42:43], v[2:3], v[36:37]
	v_fma_f64 v[50:51], v[2:3], v[36:37], -v[42:43]
	v_add_f64 v[4:5], v[52:53], -v[4:5]
	v_fmac_f64_e32 v[50:51], v[2:3], v[12:13]
	v_fmac_f64_e32 v[50:51], v[4:5], v[36:37]
	v_add_f64 v[2:3], v[42:43], v[50:51]
	v_add_f64 v[4:5], v[2:3], -v[42:43]
	v_add_f64 v[12:13], v[46:47], v[2:3]
	v_add_f64 v[4:5], v[50:51], -v[4:5]
	v_add_f64 v[36:37], v[12:13], -v[46:47]
	;; [unrolled: 1-line block ×3, first 2 shown]
	v_add_f64 v[4:5], v[48:49], v[4:5]
	v_add_f64 v[2:3], v[4:5], v[2:3]
	;; [unrolled: 1-line block ×3, first 2 shown]
	v_add_f64 v[12:13], v[4:5], -v[12:13]
	v_add_f64 v[2:3], v[2:3], -v[12:13]
	v_add_f64 v[12:13], v[32:33], v[4:5]
	v_add_f64 v[36:37], v[12:13], -v[32:33]
	v_add_f64 v[42:43], v[12:13], -v[36:37]
	v_add_f64 v[32:33], v[32:33], -v[42:43]
	v_add_f64 v[4:5], v[4:5], -v[36:37]
	v_add_f64 v[4:5], v[4:5], v[32:33]
	v_add_f64 v[32:33], v[44:45], v[2:3]
	v_add_f64 v[36:37], v[32:33], -v[44:45]
	v_add_f64 v[4:5], v[32:33], v[4:5]
	v_add_f64 v[42:43], v[32:33], -v[36:37]
	;; [unrolled: 2-line block ×3, first 2 shown]
	v_add_f64 v[2:3], v[2:3], -v[36:37]
	v_add_f64 v[12:13], v[32:33], -v[12:13]
	v_add_f64 v[2:3], v[2:3], v[42:43]
	v_add_f64 v[4:5], v[4:5], -v[12:13]
	v_add_f64 v[2:3], v[2:3], v[4:5]
	v_add_f64 v[4:5], v[32:33], v[2:3]
	v_add_f64 v[12:13], v[4:5], -v[32:33]
	buffer_load_dword v32, off, s[96:99], 0 offset:304 ; 4-byte Folded Reload
	buffer_load_dword v33, off, s[96:99], 0 offset:308 ; 4-byte Folded Reload
	;; [unrolled: 1-line block ×4, first 2 shown]
	v_add_f64 v[2:3], v[2:3], -v[12:13]
	v_mul_f64 v[12:13], v[24:25], v[4:5]
	v_writelane_b32 v127, s2, 10
	v_fma_f64 v[4:5], v[24:25], v[4:5], -v[12:13]
	v_writelane_b32 v127, s3, 11
	v_fmac_f64_e32 v[4:5], v[24:25], v[2:3]
	v_add_f64 v[2:3], v[12:13], v[4:5]
	v_cmp_class_f64_e64 vcc, v[12:13], s37
	v_readlane_b32 s0, v127, 12
	v_add_f64 v[24:25], v[2:3], -v[12:13]
	v_cndmask_b32_e32 v3, v3, v13, vcc
	v_cndmask_b32_e32 v2, v2, v12, vcc
	v_readlane_b32 s1, v127, 13
	v_mul_f64 v[12:13], v[2:3], s[0:1]
	v_readlane_b32 s0, v127, 14
	v_readlane_b32 s1, v127, 15
	s_mov_b32 s3, s1
	v_writelane_b32 v127, s0, 14
	v_writelane_b32 v127, s1, 15
	v_readlane_b32 s0, v127, 16
	v_readlane_b32 s1, v127, 17
	v_rndne_f64_e32 v[12:13], v[12:13]
	s_mov_b32 s5, s1
	v_writelane_b32 v127, s0, 16
	v_add_f64 v[4:5], v[4:5], -v[24:25]
	v_fma_f64 v[24:25], s[2:3], v[12:13], v[2:3]
	v_writelane_b32 v127, s1, 17
	s_mov_b32 s0, 0x6a5dcb37
	v_fmac_f64_e32 v[24:25], s[4:5], v[12:13]
	s_mov_b32 s1, 0x3e5ade15
	v_cmp_neq_f64_e64 vcc, |v[2:3]|, s[46:47]
	v_cndmask_b32_e32 v5, 0, v5, vcc
	v_cndmask_b32_e32 v4, 0, v4, vcc
	v_cvt_i32_f64_e32 v12, v[12:13]
	s_waitcnt vmcnt(2)
	v_fmac_f64_e32 v[32:33], s[0:1], v[24:25]
	s_waitcnt vmcnt(0)
	v_fmac_f64_e32 v[36:37], v[24:25], v[32:33]
	buffer_load_dword v32, off, s[96:99], 0 offset:320 ; 4-byte Folded Reload
	buffer_load_dword v33, off, s[96:99], 0 offset:324 ; 4-byte Folded Reload
	s_mov_b32 s0, 0
	s_mov_b32 s1, 0x40900000
	v_cmp_lt_f64_e32 vcc, s[0:1], v[2:3]
	s_mov_b32 s0, 0
	s_mov_b32 s1, 0xc090cc00
	v_cmp_ngt_f64_e64 s[0:1], s[0:1], v[2:3]
	s_waitcnt vmcnt(0)
	v_fmac_f64_e32 v[32:33], v[24:25], v[36:37]
	buffer_load_dword v36, off, s[96:99], 0 offset:328 ; 4-byte Folded Reload
	buffer_load_dword v37, off, s[96:99], 0 offset:332 ; 4-byte Folded Reload
	s_waitcnt vmcnt(0)
	v_fmac_f64_e32 v[36:37], v[24:25], v[32:33]
	buffer_load_dword v32, off, s[96:99], 0 offset:336 ; 4-byte Folded Reload
	buffer_load_dword v33, off, s[96:99], 0 offset:340 ; 4-byte Folded Reload
	s_waitcnt vmcnt(0)
	v_fmac_f64_e32 v[32:33], v[24:25], v[36:37]
	buffer_load_dword v36, off, s[96:99], 0 offset:120 ; 4-byte Folded Reload
	buffer_load_dword v37, off, s[96:99], 0 offset:124 ; 4-byte Folded Reload
	buffer_load_dword v42, off, s[96:99], 0 offset:208 ; 4-byte Folded Reload
	buffer_load_dword v43, off, s[96:99], 0 offset:212 ; 4-byte Folded Reload
	s_waitcnt vmcnt(1)
	v_mov_b32_e32 v36, v42
	s_waitcnt vmcnt(0)
	buffer_store_dword v42, off, s[96:99], 0 offset:208 ; 4-byte Folded Spill
	s_nop 0
	buffer_store_dword v43, off, s[96:99], 0 offset:212 ; 4-byte Folded Spill
	v_fmac_f64_e32 v[36:37], v[24:25], v[32:33]
	buffer_load_dword v32, off, s[96:99], 0 offset:112 ; 4-byte Folded Reload
	buffer_load_dword v33, off, s[96:99], 0 offset:116 ; 4-byte Folded Reload
	;; [unrolled: 1-line block ×4, first 2 shown]
	s_waitcnt vmcnt(1)
	v_mov_b32_e32 v32, v42
	s_waitcnt vmcnt(0)
	buffer_store_dword v42, off, s[96:99], 0 offset:216 ; 4-byte Folded Spill
	s_nop 0
	buffer_store_dword v43, off, s[96:99], 0 offset:220 ; 4-byte Folded Spill
	v_fmac_f64_e32 v[32:33], v[24:25], v[36:37]
	buffer_load_dword v36, off, s[96:99], 0 offset:248 ; 4-byte Folded Reload
	buffer_load_dword v37, off, s[96:99], 0 offset:252 ; 4-byte Folded Reload
	s_waitcnt vmcnt(0)
	v_fmac_f64_e32 v[36:37], v[24:25], v[32:33]
	buffer_load_dword v32, off, s[96:99], 0 offset:344 ; 4-byte Folded Reload
	buffer_load_dword v33, off, s[96:99], 0 offset:348 ; 4-byte Folded Reload
	s_waitcnt vmcnt(0)
	v_fmac_f64_e32 v[32:33], v[24:25], v[36:37]
	v_fma_f64 v[32:33], v[24:25], v[32:33], 1.0
	v_fma_f64 v[24:25], v[24:25], v[32:33], 1.0
	v_ldexp_f64 v[12:13], v[24:25], v12
	v_mov_b32_e32 v24, 0x7ff00000
	v_cndmask_b32_e64 v21, v12, 0, vcc
	v_cndmask_b32_e32 v24, v13, v24, vcc
	v_and_b32_e32 v13, 0x7fffffff, v13
	v_cndmask_b32_e64 v3, 0, v24, s[0:1]
	v_cndmask_b32_e64 v2, 0, v21, s[0:1]
	v_cmp_eq_f64_e64 s[2:3], s[46:47], v[12:13]
	v_pk_mov_b32 v[24:25], v[2:3], v[2:3] op_sel:[0,1]
	s_or_b64 s[2:3], vcc, s[2:3]
	v_fmac_f64_e32 v[24:25], v[24:25], v[4:5]
	s_and_b64 vcc, s[0:1], s[2:3]
	v_cndmask_b32_e32 v3, v25, v3, vcc
	v_cndmask_b32_e32 v2, v24, v2, vcc
	v_mul_f64 v[72:73], v[18:19], |v[2:3]|
.LBB1_145:                              ;   in Loop: Header=BB1_81 Depth=2
	s_or_b64 exec, exec, s[8:9]
	buffer_load_dword v2, off, s[96:99], 0 offset:16 ; 4-byte Folded Reload
	buffer_load_dword v3, off, s[96:99], 0 offset:20 ; 4-byte Folded Reload
	s_mov_b32 s0, 0x43b990ee
	s_mov_b32 s1, 0x3fb90ee6
	v_fmac_f64_e32 v[118:119], s[0:1], v[124:125]
	s_mov_b32 s0, 0x2e2bb280
	s_mov_b32 s1, 0x3fd9c3d0
	v_fmac_f64_e32 v[118:119], s[0:1], v[22:23]
	;; [unrolled: 3-line block ×4, first 2 shown]
	s_mov_b32 s0, 0
	s_mov_b32 s1, 0x408f4000
	v_cmp_nlt_f64_e32 vcc, s[0:1], v[118:119]
	s_mov_b64 s[2:3], -1
	s_mov_b64 s[4:5], -1
	s_waitcnt vmcnt(0)
	v_cmp_nlt_f64_e64 s[0:1], 0, v[2:3]
	buffer_load_dword v2, off, s[96:99], 0 offset:224 ; 4-byte Folded Reload
	buffer_load_dword v3, off, s[96:99], 0 offset:228 ; 4-byte Folded Reload
	s_or_b64 s[0:1], vcc, s[0:1]
	s_waitcnt vmcnt(0)
	v_cmp_nlt_f64_e32 vcc, v[118:119], v[2:3]
	s_and_b64 s[8:9], vcc, s[0:1]
	s_and_saveexec_b64 s[0:1], s[8:9]
	s_cbranch_execz .LBB1_80
; %bb.146:                              ;   in Loop: Header=BB1_81 Depth=2
	buffer_load_dword v2, off, s[96:99], 0 offset:192 ; 4-byte Folded Reload
	buffer_load_dword v3, off, s[96:99], 0 offset:196 ; 4-byte Folded Reload
	s_mov_b32 s2, 0x43b990ee
	s_mov_b32 s3, 0x3fb90ee6
	;; [unrolled: 1-line block ×8, first 2 shown]
	v_fmac_f64_e32 v[102:103], s[2:3], v[114:115]
	v_fmac_f64_e32 v[26:27], s[2:3], v[0:1]
	;; [unrolled: 1-line block ×12, first 2 shown]
	s_waitcnt vmcnt(0)
	v_fmac_f64_e32 v[2:3], s[2:3], v[60:61]
	v_fmac_f64_e32 v[2:3], s[4:5], v[90:91]
	;; [unrolled: 1-line block ×4, first 2 shown]
	buffer_store_dword v2, off, s[96:99], 0 offset:192 ; 4-byte Folded Spill
	s_nop 0
	buffer_store_dword v3, off, s[96:99], 0 offset:196 ; 4-byte Folded Spill
	buffer_load_dword v2, off, s[96:99], 0 offset:200 ; 4-byte Folded Reload
	s_nop 0
	buffer_load_dword v3, off, s[96:99], 0 offset:204 ; 4-byte Folded Reload
	s_waitcnt vmcnt(0)
	v_fmac_f64_e32 v[2:3], s[2:3], v[80:81]
	s_mov_b32 s2, 0
	v_fmac_f64_e32 v[2:3], s[4:5], v[82:83]
	s_mov_b32 s3, 0x407f4000
	v_fmac_f64_e32 v[2:3], s[8:9], v[64:65]
	v_cmp_gt_f64_e32 vcc, s[2:3], v[118:119]
	v_fmac_f64_e32 v[2:3], s[10:11], v[40:41]
	s_xor_b64 s[4:5], exec, -1
	s_orn2_b64 s[2:3], vcc, exec
	buffer_store_dword v2, off, s[96:99], 0 offset:200 ; 4-byte Folded Spill
	s_nop 0
	buffer_store_dword v3, off, s[96:99], 0 offset:204 ; 4-byte Folded Spill
	s_branch .LBB1_80
.LBB1_147:                              ;   in Loop: Header=BB1_79 Depth=1
	v_readlane_b32 s0, v127, 32
	v_readlane_b32 s1, v127, 33
	s_or_b64 exec, exec, s[0:1]
	s_mov_b64 s[0:1], -1
                                        ; implicit-def: $vgpr0_vgpr1
	s_and_saveexec_b64 s[2:3], s[4:5]
	s_xor_b64 s[2:3], exec, s[2:3]
	v_writelane_b32 v127, s2, 36
	v_writelane_b32 v127, s3, 37
	s_cbranch_execz .LBB1_78
; %bb.148:                              ;   in Loop: Header=BB1_79 Depth=1
	v_cmp_nlt_f64_e64 s[4:5], |v[102:103]|, s[20:21]
	v_trig_preop_f64 v[62:63], |v[102:103]|, 0
	v_trig_preop_f64 v[58:59], |v[102:103]|, 1
	v_ldexp_f64 v[82:83], |v[102:103]|, s36
	v_trig_preop_f64 v[0:1], |v[102:103]|, 2
	v_and_b32_e32 v48, 0x7fffffff, v103
                                        ; implicit-def: $vgpr44
                                        ; implicit-def: $vgpr16_vgpr17
                                        ; implicit-def: $vgpr18_vgpr19
	s_and_saveexec_b64 s[0:1], s[4:5]
	s_xor_b64 s[2:3], exec, s[0:1]
	s_cbranch_execz .LBB1_150
; %bb.149:                              ;   in Loop: Header=BB1_79 Depth=1
	v_cmp_ge_f64_e64 vcc, |v[102:103]|, s[64:65]
	v_cndmask_b32_e32 v3, v48, v83, vcc
	v_cndmask_b32_e32 v2, v102, v82, vcc
	v_mul_f64 v[8:9], v[62:63], v[2:3]
	v_mul_f64 v[4:5], v[58:59], v[2:3]
	v_fma_f64 v[10:11], v[62:63], v[2:3], -v[8:9]
	v_add_f64 v[12:13], v[4:5], v[10:11]
	v_add_f64 v[16:17], v[8:9], v[12:13]
	v_ldexp_f64 v[18:19], v[16:17], -2
	v_fract_f64_e32 v[22:23], v[18:19]
	v_cmp_neq_f64_e64 vcc, |v[18:19]|, s[46:47]
	v_cndmask_b32_e32 v19, 0, v23, vcc
	v_cndmask_b32_e32 v18, 0, v22, vcc
	v_add_f64 v[22:23], v[12:13], -v[4:5]
	v_add_f64 v[10:11], v[10:11], -v[22:23]
	;; [unrolled: 1-line block ×4, first 2 shown]
	v_add_f64 v[10:11], v[10:11], v[22:23]
	v_fma_f64 v[4:5], v[58:59], v[2:3], -v[4:5]
	v_mul_f64 v[22:23], v[0:1], v[2:3]
	v_add_f64 v[24:25], v[22:23], v[4:5]
	v_add_f64 v[32:33], v[24:25], v[10:11]
	v_add_f64 v[8:9], v[16:17], -v[8:9]
	v_add_f64 v[16:17], v[32:33], -v[24:25]
	;; [unrolled: 1-line block ×5, first 2 shown]
	v_add_f64 v[10:11], v[10:11], v[16:17]
	v_add_f64 v[16:17], v[24:25], -v[22:23]
	v_add_f64 v[4:5], v[4:5], -v[16:17]
	v_add_f64 v[16:17], v[24:25], -v[16:17]
	v_add_f64 v[8:9], v[12:13], -v[8:9]
	v_add_f64 v[16:17], v[22:23], -v[16:17]
	v_add_f64 v[12:13], v[8:9], v[32:33]
	v_add_f64 v[4:5], v[4:5], v[16:17]
	v_add_f64 v[8:9], v[12:13], -v[8:9]
	v_add_f64 v[4:5], v[4:5], v[10:11]
	v_fma_f64 v[2:3], v[0:1], v[2:3], -v[22:23]
	v_add_f64 v[8:9], v[32:33], -v[8:9]
	v_add_f64 v[2:3], v[2:3], v[4:5]
	v_ldexp_f64 v[4:5], v[18:19], 2
	v_add_f64 v[2:3], v[8:9], v[2:3]
	v_add_f64 v[8:9], v[12:13], v[4:5]
	v_cmp_gt_f64_e32 vcc, 0, v[8:9]
	v_mov_b32_e32 v8, 0x40100000
	v_cndmask_b32_e32 v21, 0, v8, vcc
	v_add_f64 v[4:5], v[4:5], v[20:21]
	v_add_f64 v[8:9], v[12:13], v[4:5]
	v_cvt_i32_f64_e32 v10, v[8:9]
	v_cvt_f64_i32_e32 v[8:9], v10
	v_add_f64 v[4:5], v[4:5], -v[8:9]
	v_add_f64 v[8:9], v[12:13], v[4:5]
	v_add_f64 v[4:5], v[8:9], -v[4:5]
	v_cmp_le_f64_e32 vcc, 0.5, v[8:9]
	v_add_f64 v[4:5], v[12:13], -v[4:5]
	v_cndmask_b32_e32 v21, 0, v126, vcc
	v_add_f64 v[2:3], v[2:3], v[4:5]
	v_add_f64 v[4:5], v[8:9], -v[20:21]
	v_add_f64 v[8:9], v[4:5], v[2:3]
	v_add_f64 v[4:5], v[8:9], -v[4:5]
	s_mov_b32 s16, s14
	v_add_f64 v[2:3], v[2:3], -v[4:5]
	v_mul_f64 v[4:5], v[8:9], s[16:17]
	v_addc_co_u32_e64 v44, s[0:1], 0, v10, vcc
	v_fma_f64 v[10:11], v[8:9], s[16:17], -v[4:5]
	s_mov_b32 s79, s77
	v_fmac_f64_e32 v[10:11], s[78:79], v[8:9]
	v_fmac_f64_e32 v[10:11], s[16:17], v[2:3]
	v_add_f64 v[16:17], v[4:5], v[10:11]
	v_add_f64 v[2:3], v[16:17], -v[4:5]
	v_add_f64 v[18:19], v[10:11], -v[2:3]
	s_andn2_saveexec_b64 s[0:1], s[2:3]
	s_cbranch_execz .LBB1_152
	s_branch .LBB1_151
.LBB1_150:                              ;   in Loop: Header=BB1_79 Depth=1
	s_andn2_saveexec_b64 s[0:1], s[2:3]
	s_cbranch_execz .LBB1_152
.LBB1_151:                              ;   in Loop: Header=BB1_79 Depth=1
	v_mul_f64 v[2:3], |v[102:103]|, s[80:81]
	v_rndne_f64_e32 v[2:3], v[2:3]
	v_fma_f64 v[4:5], v[2:3], s[14:15], |v[102:103]|
	v_mul_f64 v[10:11], v[2:3], s[82:83]
	v_add_f64 v[16:17], v[4:5], v[10:11]
	v_fma_f64 v[8:9], s[82:83], v[2:3], v[4:5]
	s_mov_b32 s76, s82
	v_add_f64 v[4:5], v[4:5], -v[16:17]
	v_fma_f64 v[12:13], s[76:77], v[2:3], v[10:11]
	v_add_f64 v[4:5], v[4:5], v[10:11]
	v_add_f64 v[10:11], v[16:17], -v[8:9]
	v_add_f64 v[4:5], v[10:11], v[4:5]
	v_add_f64 v[4:5], v[4:5], -v[12:13]
	v_fmac_f64_e32 v[4:5], s[88:89], v[2:3]
	v_add_f64 v[16:17], v[8:9], v[4:5]
	v_add_f64 v[8:9], v[16:17], -v[8:9]
	v_add_f64 v[18:19], v[4:5], -v[8:9]
	v_cvt_i32_f64_e32 v44, v[2:3]
.LBB1_152:                              ;   in Loop: Header=BB1_79 Depth=1
	s_or_b64 exec, exec, s[0:1]
                                        ; implicit-def: $vgpr45
                                        ; implicit-def: $vgpr10_vgpr11
                                        ; implicit-def: $vgpr34_vgpr35
	s_and_saveexec_b64 s[0:1], s[4:5]
	s_xor_b64 s[2:3], exec, s[0:1]
	s_cbranch_execz .LBB1_154
; %bb.153:                              ;   in Loop: Header=BB1_79 Depth=1
	v_cmp_ge_f64_e64 vcc, |v[102:103]|, s[64:65]
	v_cndmask_b32_e32 v3, v48, v83, vcc
	v_cndmask_b32_e32 v2, v102, v82, vcc
	v_mul_f64 v[8:9], v[62:63], v[2:3]
	v_mul_f64 v[4:5], v[58:59], v[2:3]
	v_fma_f64 v[10:11], v[62:63], v[2:3], -v[8:9]
	v_add_f64 v[12:13], v[4:5], v[10:11]
	v_add_f64 v[22:23], v[8:9], v[12:13]
	v_ldexp_f64 v[24:25], v[22:23], -2
	v_fract_f64_e32 v[32:33], v[24:25]
	v_cmp_neq_f64_e64 vcc, |v[24:25]|, s[46:47]
	v_cndmask_b32_e32 v25, 0, v33, vcc
	v_cndmask_b32_e32 v24, 0, v32, vcc
	v_add_f64 v[32:33], v[12:13], -v[4:5]
	v_add_f64 v[10:11], v[10:11], -v[32:33]
	v_add_f64 v[32:33], v[12:13], -v[32:33]
	v_add_f64 v[32:33], v[4:5], -v[32:33]
	v_add_f64 v[10:11], v[10:11], v[32:33]
	v_fma_f64 v[4:5], v[58:59], v[2:3], -v[4:5]
	v_mul_f64 v[32:33], v[0:1], v[2:3]
	v_add_f64 v[34:35], v[32:33], v[4:5]
	v_add_f64 v[36:37], v[34:35], v[10:11]
	v_add_f64 v[8:9], v[22:23], -v[8:9]
	v_add_f64 v[22:23], v[36:37], -v[34:35]
	;; [unrolled: 1-line block ×5, first 2 shown]
	v_add_f64 v[10:11], v[10:11], v[22:23]
	v_add_f64 v[22:23], v[34:35], -v[32:33]
	v_add_f64 v[4:5], v[4:5], -v[22:23]
	;; [unrolled: 1-line block ×5, first 2 shown]
	v_add_f64 v[12:13], v[8:9], v[36:37]
	v_add_f64 v[4:5], v[4:5], v[22:23]
	v_add_f64 v[8:9], v[12:13], -v[8:9]
	v_add_f64 v[4:5], v[4:5], v[10:11]
	v_fma_f64 v[2:3], v[0:1], v[2:3], -v[32:33]
	v_add_f64 v[8:9], v[36:37], -v[8:9]
	v_add_f64 v[2:3], v[2:3], v[4:5]
	v_ldexp_f64 v[4:5], v[24:25], 2
	v_add_f64 v[2:3], v[8:9], v[2:3]
	v_add_f64 v[8:9], v[12:13], v[4:5]
	v_cmp_gt_f64_e32 vcc, 0, v[8:9]
	v_mov_b32_e32 v8, 0x40100000
	v_cndmask_b32_e32 v21, 0, v8, vcc
	v_add_f64 v[4:5], v[4:5], v[20:21]
	v_add_f64 v[8:9], v[12:13], v[4:5]
	v_cvt_i32_f64_e32 v10, v[8:9]
	v_cvt_f64_i32_e32 v[8:9], v10
	v_add_f64 v[4:5], v[4:5], -v[8:9]
	v_add_f64 v[8:9], v[12:13], v[4:5]
	v_add_f64 v[4:5], v[8:9], -v[4:5]
	v_cmp_le_f64_e32 vcc, 0.5, v[8:9]
	v_add_f64 v[4:5], v[12:13], -v[4:5]
	v_cndmask_b32_e32 v21, 0, v126, vcc
	v_add_f64 v[2:3], v[2:3], v[4:5]
	v_add_f64 v[4:5], v[8:9], -v[20:21]
	v_add_f64 v[8:9], v[4:5], v[2:3]
	v_add_f64 v[4:5], v[8:9], -v[4:5]
	s_mov_b32 s16, s14
	v_add_f64 v[2:3], v[2:3], -v[4:5]
	v_mul_f64 v[4:5], v[8:9], s[16:17]
	v_fma_f64 v[12:13], v[8:9], s[16:17], -v[4:5]
	s_mov_b32 s79, s77
	v_fmac_f64_e32 v[12:13], s[78:79], v[8:9]
	v_fmac_f64_e32 v[12:13], s[16:17], v[2:3]
	v_addc_co_u32_e64 v45, s[0:1], 0, v10, vcc
	v_add_f64 v[10:11], v[4:5], v[12:13]
	v_add_f64 v[2:3], v[10:11], -v[4:5]
	v_add_f64 v[34:35], v[12:13], -v[2:3]
	s_andn2_saveexec_b64 s[0:1], s[2:3]
	s_cbranch_execnz .LBB1_155
	s_branch .LBB1_156
.LBB1_154:                              ;   in Loop: Header=BB1_79 Depth=1
	s_andn2_saveexec_b64 s[0:1], s[2:3]
	s_cbranch_execz .LBB1_156
.LBB1_155:                              ;   in Loop: Header=BB1_79 Depth=1
	v_mul_f64 v[2:3], |v[102:103]|, s[80:81]
	v_rndne_f64_e32 v[2:3], v[2:3]
	v_fma_f64 v[4:5], v[2:3], s[14:15], |v[102:103]|
	v_mul_f64 v[10:11], v[2:3], s[82:83]
	v_add_f64 v[22:23], v[4:5], v[10:11]
	v_fma_f64 v[8:9], s[82:83], v[2:3], v[4:5]
	s_mov_b32 s76, s82
	v_add_f64 v[4:5], v[4:5], -v[22:23]
	v_fma_f64 v[12:13], s[76:77], v[2:3], v[10:11]
	v_add_f64 v[4:5], v[4:5], v[10:11]
	v_add_f64 v[10:11], v[22:23], -v[8:9]
	v_add_f64 v[4:5], v[10:11], v[4:5]
	v_add_f64 v[4:5], v[4:5], -v[12:13]
	v_fmac_f64_e32 v[4:5], s[88:89], v[2:3]
	v_add_f64 v[10:11], v[8:9], v[4:5]
	v_add_f64 v[8:9], v[10:11], -v[8:9]
	v_add_f64 v[34:35], v[4:5], -v[8:9]
	v_cvt_i32_f64_e32 v45, v[2:3]
.LBB1_156:                              ;   in Loop: Header=BB1_79 Depth=1
	s_or_b64 exec, exec, s[0:1]
	buffer_load_dword v2, off, s[96:99], 0 offset:376 ; 4-byte Folded Reload
	buffer_load_dword v3, off, s[96:99], 0 offset:380 ; 4-byte Folded Reload
	v_add_f64 v[24:25], v[118:119], v[118:119]
	v_fma_f64 v[8:9], v[118:119], v[118:119], -v[24:25]
	v_mul_f64 v[22:23], v[118:119], v[118:119]
	v_add_f64 v[42:43], v[6:7], v[8:9]
                                        ; implicit-def: $vgpr76_vgpr77
                                        ; implicit-def: $sgpr2_sgpr3
                                        ; implicit-def: $vgpr92_vgpr93
	s_waitcnt vmcnt(0)
	v_cmp_nlt_f64_e32 vcc, v[118:119], v[2:3]
	s_and_saveexec_b64 s[0:1], vcc
	s_xor_b64 s[0:1], exec, s[0:1]
	s_cbranch_execz .LBB1_158
; %bb.157:                              ;   in Loop: Header=BB1_79 Depth=1
	s_mov_b32 s2, 0
	s_brev_b32 s3, 8
	v_cmp_gt_f64_e32 vcc, s[2:3], v[118:119]
	v_cndmask_b32_e64 v2, 0, 1, vcc
	v_lshlrev_b32_e32 v2, 8, v2
	v_ldexp_f64 v[2:3], v[118:119], v2
	v_rsq_f64_e32 v[4:5], v[2:3]
	v_mov_b32_e32 v21, 0xffffff80
	v_mov_b32_e32 v31, 0x260
	s_mov_b32 s6, 0
	v_mul_f64 v[12:13], v[2:3], v[4:5]
	v_mul_f64 v[4:5], v[4:5], 0.5
	v_fma_f64 v[32:33], -v[4:5], v[12:13], 0.5
	v_fmac_f64_e32 v[12:13], v[12:13], v[32:33]
	v_fma_f64 v[36:37], -v[12:13], v[12:13], v[2:3]
	v_fmac_f64_e32 v[4:5], v[4:5], v[32:33]
	v_fmac_f64_e32 v[12:13], v[36:37], v[4:5]
	v_fma_f64 v[32:33], -v[12:13], v[12:13], v[2:3]
	v_fmac_f64_e32 v[12:13], v[32:33], v[4:5]
	v_cndmask_b32_e32 v4, 0, v21, vcc
	v_ldexp_f64 v[4:5], v[12:13], v4
	buffer_load_dword v12, off, s[96:99], 0 offset:368 ; 4-byte Folded Reload
	buffer_load_dword v13, off, s[96:99], 0 offset:372 ; 4-byte Folded Reload
	v_cmp_class_f64_e32 vcc, v[2:3], v31
	v_cndmask_b32_e32 v3, v5, v3, vcc
	v_cndmask_b32_e32 v2, v4, v2, vcc
	v_pk_mov_b32 v[4:5], v[22:23], v[22:23] op_sel:[0,1]
	v_fmac_f64_e32 v[4:5], 0xc0080000, v[118:119]
	s_brev_b32 s7, 8
	v_add_f64 v[42:43], v[6:7], v[8:9]
	s_waitcnt vmcnt(0)
	v_fmac_f64_e32 v[4:5], v[12:13], v[2:3]
	v_cmp_gt_f64_e32 vcc, s[2:3], v[4:5]
	v_cndmask_b32_e64 v12, 0, 1, vcc
	v_lshlrev_b32_e32 v12, 8, v12
	v_ldexp_f64 v[4:5], v[4:5], v12
	v_rsq_f64_e32 v[12:13], v[4:5]
	v_mul_f64 v[32:33], v[4:5], v[12:13]
	v_mul_f64 v[12:13], v[12:13], 0.5
	v_fma_f64 v[36:37], -v[12:13], v[32:33], 0.5
	v_fmac_f64_e32 v[32:33], v[32:33], v[36:37]
	v_fma_f64 v[38:39], -v[32:33], v[32:33], v[4:5]
	v_fmac_f64_e32 v[12:13], v[12:13], v[36:37]
	v_fmac_f64_e32 v[32:33], v[38:39], v[12:13]
	v_fma_f64 v[36:37], -v[32:33], v[32:33], v[4:5]
	v_fmac_f64_e32 v[32:33], v[36:37], v[12:13]
	v_cndmask_b32_e32 v12, 0, v21, vcc
	v_ldexp_f64 v[12:13], v[32:33], v12
	v_cmp_class_f64_e32 vcc, v[4:5], v31
	v_cndmask_b32_e32 v5, v13, v5, vcc
	v_cndmask_b32_e32 v4, v12, v4, vcc
	v_mul_f64 v[12:13], v[2:3], v[4:5]
	v_div_scale_f64 v[32:33], s[2:3], v[12:13], v[12:13], 1.0
	v_rcp_f64_e32 v[36:37], v[32:33]
	v_fma_f64 v[2:3], s[12:13], v[2:3], v[22:23]
	v_mul_f64 v[4:5], v[118:119], v[4:5]
	v_fma_f64 v[38:39], -v[32:33], v[36:37], 1.0
	v_fmac_f64_e32 v[36:37], v[36:37], v[38:39]
	v_fma_f64 v[38:39], -v[32:33], v[36:37], 1.0
	v_fmac_f64_e32 v[36:37], v[36:37], v[38:39]
	v_div_scale_f64 v[38:39], vcc, 1.0, v[12:13], 1.0
	v_mul_f64 v[40:41], v[38:39], v[36:37]
	v_fma_f64 v[32:33], -v[32:33], v[40:41], v[38:39]
	s_nop 1
	v_div_fmas_f64 v[32:33], v[32:33], v[36:37], v[40:41]
	v_div_fixup_f64 v[92:93], v[32:33], v[12:13], 1.0
	v_div_scale_f64 v[12:13], s[2:3], v[4:5], v[4:5], v[2:3]
	v_rcp_f64_e32 v[32:33], v[12:13]
	s_mov_b64 s[2:3], 0
	v_fma_f64 v[36:37], -v[12:13], v[32:33], 1.0
	v_fmac_f64_e32 v[32:33], v[32:33], v[36:37]
	v_fma_f64 v[36:37], -v[12:13], v[32:33], 1.0
	v_fmac_f64_e32 v[32:33], v[32:33], v[36:37]
	v_div_scale_f64 v[36:37], vcc, v[2:3], v[4:5], v[2:3]
	v_mul_f64 v[38:39], v[36:37], v[32:33]
	v_fma_f64 v[12:13], -v[12:13], v[38:39], v[36:37]
	s_nop 1
	v_div_fmas_f64 v[12:13], v[12:13], v[32:33], v[38:39]
	v_div_fixup_f64 v[76:77], v[12:13], v[4:5], v[2:3]
	s_or_saveexec_b64 s[8:9], s[0:1]
	v_pk_mov_b32 v[74:75], s[2:3], s[2:3] op_sel:[0,1]
	s_xor_b64 exec, exec, s[8:9]
	s_cbranch_execz .LBB1_160
	s_branch .LBB1_159
.LBB1_158:                              ;   in Loop: Header=BB1_79 Depth=1
	s_or_saveexec_b64 s[8:9], s[0:1]
	v_pk_mov_b32 v[74:75], s[2:3], s[2:3] op_sel:[0,1]
	s_xor_b64 exec, exec, s[8:9]
	s_cbranch_execz .LBB1_160
.LBB1_159:                              ;   in Loop: Header=BB1_79 Depth=1
	buffer_load_dword v2, off, s[96:99], 0 offset:408 ; 4-byte Folded Reload
	buffer_load_dword v3, off, s[96:99], 0 offset:412 ; 4-byte Folded Reload
	;; [unrolled: 1-line block ×4, first 2 shown]
	v_mov_b32_e32 v49, 0x3ff00000
	s_mov_b32 s2, 0x4222de17
	s_mov_b32 s3, 0x3fbdee67
	;; [unrolled: 1-line block ×4, first 2 shown]
	v_mov_b32_e32 v126, 0x3ff00000
	s_waitcnt vmcnt(2)
	v_add_f64 v[2:3], v[24:25], -v[2:3]
	v_div_scale_f64 v[4:5], s[0:1], v[42:43], v[42:43], v[2:3]
	v_rcp_f64_e32 v[8:9], v[4:5]
	v_div_scale_f64 v[12:13], vcc, v[2:3], v[42:43], v[2:3]
	v_fma_f64 v[32:33], -v[4:5], v[8:9], 1.0
	v_fmac_f64_e32 v[8:9], v[8:9], v[32:33]
	v_fma_f64 v[32:33], -v[4:5], v[8:9], 1.0
	v_fmac_f64_e32 v[8:9], v[8:9], v[32:33]
	v_mul_f64 v[32:33], v[12:13], v[8:9]
	v_fma_f64 v[4:5], -v[4:5], v[32:33], v[12:13]
	v_div_scale_f64 v[12:13], s[0:1], v[118:119], v[118:119], 2.0
	v_rcp_f64_e32 v[36:37], v[12:13]
	v_div_fmas_f64 v[4:5], v[4:5], v[8:9], v[32:33]
	v_div_fixup_f64 v[8:9], v[4:5], v[42:43], v[2:3]
	v_fma_f64 v[2:3], -v[12:13], v[36:37], 1.0
	v_fmac_f64_e32 v[36:37], v[36:37], v[2:3]
	v_fma_f64 v[2:3], -v[12:13], v[36:37], 1.0
	v_fmac_f64_e32 v[36:37], v[36:37], v[2:3]
	v_div_scale_f64 v[2:3], vcc, 2.0, v[118:119], 2.0
	v_mul_f64 v[4:5], v[2:3], v[36:37]
	v_fma_f64 v[2:3], -v[12:13], v[4:5], v[2:3]
	s_waitcnt vmcnt(0)
	v_div_scale_f64 v[12:13], s[0:1], v[118:119], v[118:119], v[40:41]
	v_rcp_f64_e32 v[32:33], v[12:13]
	v_div_fmas_f64 v[2:3], v[2:3], v[36:37], v[4:5]
	v_div_fixup_f64 v[38:39], v[2:3], v[118:119], 2.0
	v_readlane_b32 s0, v127, 22
	v_fma_f64 v[2:3], -v[12:13], v[32:33], 1.0
	v_fmac_f64_e32 v[32:33], v[32:33], v[2:3]
	v_fma_f64 v[2:3], -v[12:13], v[32:33], 1.0
	v_fmac_f64_e32 v[32:33], v[32:33], v[2:3]
	v_div_scale_f64 v[2:3], vcc, v[40:41], v[118:119], v[40:41]
	v_mul_f64 v[4:5], v[2:3], v[32:33]
	v_fma_f64 v[2:3], -v[12:13], v[4:5], v[2:3]
	v_readlane_b32 s1, v127, 23
	s_nop 0
	v_div_fmas_f64 v[2:3], v[2:3], v[32:33], v[4:5]
	v_div_fixup_f64 v[2:3], v[2:3], v[118:119], v[40:41]
	v_add_f64 v[40:41], v[2:3], -1.0
	v_cmp_eq_f64_e32 vcc, 1.0, v[40:41]
	v_mov_b32_e32 v2, 0x40080000
	v_cndmask_b32_e32 v21, v2, v49, vcc
	v_frexp_mant_f64_e64 v[2:3], |v[40:41]|
	s_mov_b32 s0, s34
	v_cmp_gt_f64_e32 vcc, s[0:1], v[2:3]
	v_cndmask_b32_e64 v5, v49, 2.0, vcc
	v_mov_b32_e32 v4, v20
	v_mul_f64 v[2:3], v[2:3], v[4:5]
	v_frexp_exp_i32_f64_e32 v12, v[40:41]
	v_add_f64 v[4:5], v[2:3], 1.0
	v_subbrev_co_u32_e32 v31, vcc, 0, v12, vcc
	v_rcp_f64_e32 v[12:13], v[4:5]
	v_add_f64 v[36:37], v[4:5], -1.0
	v_add_f64 v[32:33], v[2:3], -1.0
	v_add_f64 v[2:3], v[2:3], -v[36:37]
	v_fma_f64 v[36:37], -v[4:5], v[12:13], 1.0
	v_fmac_f64_e32 v[12:13], v[36:37], v[12:13]
	v_fma_f64 v[36:37], -v[4:5], v[12:13], 1.0
	v_fmac_f64_e32 v[12:13], v[36:37], v[12:13]
	v_mul_f64 v[36:37], v[32:33], v[12:13]
	v_mul_f64 v[46:47], v[4:5], v[36:37]
	v_fma_f64 v[4:5], v[36:37], v[4:5], -v[46:47]
	v_fmac_f64_e32 v[4:5], v[36:37], v[2:3]
	v_add_f64 v[2:3], v[46:47], v[4:5]
	v_add_f64 v[50:51], v[32:33], -v[2:3]
	v_add_f64 v[46:47], v[2:3], -v[46:47]
	;; [unrolled: 1-line block ×5, first 2 shown]
	v_add_f64 v[2:3], v[4:5], v[2:3]
	v_add_f64 v[2:3], v[50:51], v[2:3]
	v_mul_f64 v[2:3], v[12:13], v[2:3]
	v_add_f64 v[4:5], v[36:37], v[2:3]
	v_add_f64 v[12:13], v[4:5], -v[36:37]
	v_add_f64 v[2:3], v[2:3], -v[12:13]
	v_mul_f64 v[12:13], v[4:5], v[4:5]
	v_fma_f64 v[32:33], v[4:5], v[4:5], -v[12:13]
	v_add_f64 v[36:37], v[2:3], v[2:3]
	v_fmac_f64_e32 v[32:33], v[4:5], v[36:37]
	v_add_f64 v[36:37], v[12:13], v[32:33]
	v_add_f64 v[12:13], v[36:37], -v[12:13]
	v_add_f64 v[12:13], v[32:33], -v[12:13]
	buffer_load_dword v32, off, s[96:99], 0 offset:256 ; 4-byte Folded Reload
	buffer_load_dword v33, off, s[96:99], 0 offset:260 ; 4-byte Folded Reload
	;; [unrolled: 1-line block ×4, first 2 shown]
	v_mul_f64 v[56:57], v[4:5], v[36:37]
	v_fma_f64 v[60:61], v[36:37], v[4:5], -v[56:57]
	v_fmac_f64_e32 v[60:61], v[36:37], v[2:3]
	v_fmac_f64_e32 v[60:61], v[12:13], v[4:5]
	v_ldexp_f64 v[54:55], v[2:3], 1
	v_add_f64 v[2:3], v[56:57], v[60:61]
	s_waitcnt vmcnt(2)
	v_fmac_f64_e32 v[32:33], s[2:3], v[36:37]
	s_waitcnt vmcnt(0)
	v_fmac_f64_e32 v[46:47], v[36:37], v[32:33]
	buffer_load_dword v32, off, s[96:99], 0 offset:272 ; 4-byte Folded Reload
	buffer_load_dword v33, off, s[96:99], 0 offset:276 ; 4-byte Folded Reload
	s_mov_b32 s2, 0xfefa39ef
	s_mov_b32 s3, 0x3fe62e42
	s_waitcnt vmcnt(0)
	v_fmac_f64_e32 v[32:33], v[36:37], v[46:47]
	buffer_load_dword v46, off, s[96:99], 0 offset:280 ; 4-byte Folded Reload
	buffer_load_dword v47, off, s[96:99], 0 offset:284 ; 4-byte Folded Reload
	s_waitcnt vmcnt(0)
	v_fmac_f64_e32 v[46:47], v[36:37], v[32:33]
	buffer_load_dword v32, off, s[96:99], 0 offset:288 ; 4-byte Folded Reload
	buffer_load_dword v33, off, s[96:99], 0 offset:292 ; 4-byte Folded Reload
	;; [unrolled: 4-line block ×5, first 2 shown]
	s_waitcnt vmcnt(0)
	v_fmac_f64_e32 v[46:47], v[36:37], v[32:33]
	v_cvt_f64_i32_e32 v[32:33], v31
	v_mul_f64 v[50:51], v[32:33], s[2:3]
	v_fma_f64 v[52:53], v[32:33], s[2:3], -v[50:51]
	v_fmac_f64_e32 v[52:53], s[10:11], v[32:33]
	v_add_f64 v[32:33], v[50:51], v[52:53]
	v_add_f64 v[50:51], v[32:33], -v[50:51]
	v_add_f64 v[50:51], v[52:53], -v[50:51]
	v_ldexp_f64 v[52:53], v[4:5], 1
	v_add_f64 v[4:5], v[2:3], -v[56:57]
	v_mul_f64 v[56:57], v[36:37], v[46:47]
	v_fma_f64 v[36:37], v[36:37], v[46:47], -v[56:57]
	v_fmac_f64_e32 v[36:37], v[12:13], v[46:47]
	s_mov_b32 s3, s1
	v_add_f64 v[12:13], v[56:57], v[36:37]
	v_writelane_b32 v127, s2, 22
	v_add_f64 v[46:47], v[12:13], -v[56:57]
	v_writelane_b32 v127, s3, 23
	v_add_f64 v[36:37], v[36:37], -v[46:47]
	v_add_f64 v[46:47], v[12:13], s[0:1]
	v_readlane_b32 s0, v127, 10
	v_readlane_b32 s1, v127, 11
	s_mov_b32 s0, s34
	s_mov_b32 s3, s1
	v_add_f64 v[56:57], v[46:47], s[0:1]
	s_mov_b32 s0, 0xd5df274d
	s_mov_b32 s1, 0x3c8543b0
	v_add_f64 v[12:13], v[12:13], -v[56:57]
	v_add_f64 v[36:37], v[36:37], s[0:1]
	v_add_f64 v[12:13], v[36:37], v[12:13]
	;; [unrolled: 1-line block ×3, first 2 shown]
	v_add_f64 v[46:47], v[46:47], -v[36:37]
	v_add_f64 v[12:13], v[12:13], v[46:47]
	v_mul_f64 v[46:47], v[2:3], v[36:37]
	v_fma_f64 v[56:57], v[2:3], v[36:37], -v[46:47]
	v_add_f64 v[4:5], v[60:61], -v[4:5]
	v_fmac_f64_e32 v[56:57], v[2:3], v[12:13]
	v_fmac_f64_e32 v[56:57], v[4:5], v[36:37]
	v_add_f64 v[2:3], v[46:47], v[56:57]
	v_add_f64 v[4:5], v[2:3], -v[46:47]
	v_add_f64 v[12:13], v[52:53], v[2:3]
	v_add_f64 v[4:5], v[56:57], -v[4:5]
	v_add_f64 v[36:37], v[12:13], -v[52:53]
	;; [unrolled: 1-line block ×3, first 2 shown]
	v_add_f64 v[4:5], v[54:55], v[4:5]
	v_add_f64 v[2:3], v[4:5], v[2:3]
	;; [unrolled: 1-line block ×3, first 2 shown]
	v_add_f64 v[12:13], v[4:5], -v[12:13]
	v_add_f64 v[2:3], v[2:3], -v[12:13]
	v_add_f64 v[12:13], v[32:33], v[4:5]
	v_add_f64 v[36:37], v[12:13], -v[32:33]
	v_add_f64 v[46:47], v[12:13], -v[36:37]
	;; [unrolled: 1-line block ×4, first 2 shown]
	v_add_f64 v[4:5], v[4:5], v[32:33]
	v_add_f64 v[32:33], v[50:51], v[2:3]
	v_add_f64 v[36:37], v[32:33], -v[50:51]
	v_add_f64 v[46:47], v[32:33], -v[36:37]
	;; [unrolled: 1-line block ×4, first 2 shown]
	buffer_load_dword v36, off, s[96:99], 0 offset:304 ; 4-byte Folded Reload
	buffer_load_dword v37, off, s[96:99], 0 offset:308 ; 4-byte Folded Reload
	v_add_f64 v[2:3], v[2:3], v[46:47]
	buffer_load_dword v46, off, s[96:99], 0 offset:312 ; 4-byte Folded Reload
	buffer_load_dword v47, off, s[96:99], 0 offset:316 ; 4-byte Folded Reload
	v_add_f64 v[4:5], v[32:33], v[4:5]
	v_add_f64 v[32:33], v[12:13], v[4:5]
	v_add_f64 v[12:13], v[32:33], -v[12:13]
	v_add_f64 v[4:5], v[4:5], -v[12:13]
	v_add_f64 v[2:3], v[2:3], v[4:5]
	v_add_f64 v[4:5], v[32:33], v[2:3]
	v_add_f64 v[12:13], v[4:5], -v[32:33]
	v_add_f64 v[2:3], v[2:3], -v[12:13]
	v_mul_f64 v[12:13], v[20:21], v[4:5]
	v_writelane_b32 v127, s2, 10
	v_fma_f64 v[4:5], v[20:21], v[4:5], -v[12:13]
	v_writelane_b32 v127, s3, 11
	v_fmac_f64_e32 v[4:5], v[20:21], v[2:3]
	s_movk_i32 s11, 0x204
	v_add_f64 v[2:3], v[12:13], v[4:5]
	v_cmp_class_f64_e64 vcc, v[12:13], s11
	v_readlane_b32 s0, v127, 12
	v_add_f64 v[32:33], v[2:3], -v[12:13]
	v_cndmask_b32_e32 v3, v3, v13, vcc
	v_cndmask_b32_e32 v2, v2, v12, vcc
	v_readlane_b32 s1, v127, 13
	v_mul_f64 v[12:13], v[2:3], s[0:1]
	v_readlane_b32 s0, v127, 14
	v_readlane_b32 s1, v127, 15
	s_mov_b32 s3, s1
	v_writelane_b32 v127, s0, 14
	v_writelane_b32 v127, s1, 15
	v_rndne_f64_e32 v[12:13], v[12:13]
	v_readlane_b32 s0, v127, 16
	v_add_f64 v[4:5], v[4:5], -v[32:33]
	v_fma_f64 v[32:33], s[2:3], v[12:13], v[2:3]
	v_readlane_b32 s1, v127, 17
	s_mov_b32 s0, s10
	s_mov_b32 s3, s1
	v_fmac_f64_e32 v[32:33], s[0:1], v[12:13]
	s_mov_b32 s0, 0x6a5dcb37
	s_mov_b32 s1, 0x3e5ade15
	v_cmp_neq_f64_e64 vcc, |v[2:3]|, s[46:47]
	v_cndmask_b32_e32 v5, 0, v5, vcc
	v_cndmask_b32_e32 v4, 0, v4, vcc
	v_cvt_i32_f64_e32 v12, v[12:13]
	v_writelane_b32 v127, s2, 16
	v_writelane_b32 v127, s3, 17
	s_brev_b32 s10, -2
	s_waitcnt vmcnt(2)
	v_fmac_f64_e32 v[36:37], s[0:1], v[32:33]
	s_mov_b32 s0, 0
	s_waitcnt vmcnt(0)
	v_fmac_f64_e32 v[46:47], v[32:33], v[36:37]
	buffer_load_dword v36, off, s[96:99], 0 offset:320 ; 4-byte Folded Reload
	buffer_load_dword v37, off, s[96:99], 0 offset:324 ; 4-byte Folded Reload
	s_mov_b32 s1, 0x40900000
	v_cmp_lt_f64_e32 vcc, s[0:1], v[2:3]
	s_mov_b32 s0, 0
	s_mov_b32 s1, 0xc090cc00
	v_cmp_ngt_f64_e64 s[0:1], s[0:1], v[2:3]
	s_waitcnt vmcnt(0)
	v_fmac_f64_e32 v[36:37], v[32:33], v[46:47]
	buffer_load_dword v46, off, s[96:99], 0 offset:328 ; 4-byte Folded Reload
	buffer_load_dword v47, off, s[96:99], 0 offset:332 ; 4-byte Folded Reload
	s_waitcnt vmcnt(0)
	v_fmac_f64_e32 v[46:47], v[32:33], v[36:37]
	buffer_load_dword v36, off, s[96:99], 0 offset:336 ; 4-byte Folded Reload
	buffer_load_dword v37, off, s[96:99], 0 offset:340 ; 4-byte Folded Reload
	;; [unrolled: 4-line block ×3, first 2 shown]
	buffer_load_dword v50, off, s[96:99], 0 offset:208 ; 4-byte Folded Reload
	buffer_load_dword v51, off, s[96:99], 0 offset:212 ; 4-byte Folded Reload
	s_waitcnt vmcnt(1)
	v_mov_b32_e32 v46, v50
	s_waitcnt vmcnt(0)
	buffer_store_dword v50, off, s[96:99], 0 offset:208 ; 4-byte Folded Spill
	s_nop 0
	buffer_store_dword v51, off, s[96:99], 0 offset:212 ; 4-byte Folded Spill
	v_fmac_f64_e32 v[46:47], v[32:33], v[36:37]
	buffer_load_dword v36, off, s[96:99], 0 offset:112 ; 4-byte Folded Reload
	buffer_load_dword v37, off, s[96:99], 0 offset:116 ; 4-byte Folded Reload
	;; [unrolled: 1-line block ×4, first 2 shown]
	s_waitcnt vmcnt(1)
	v_mov_b32_e32 v36, v50
	s_waitcnt vmcnt(0)
	buffer_store_dword v50, off, s[96:99], 0 offset:216 ; 4-byte Folded Spill
	s_nop 0
	buffer_store_dword v51, off, s[96:99], 0 offset:220 ; 4-byte Folded Spill
	v_fmac_f64_e32 v[36:37], v[32:33], v[46:47]
	buffer_load_dword v46, off, s[96:99], 0 offset:248 ; 4-byte Folded Reload
	buffer_load_dword v47, off, s[96:99], 0 offset:252 ; 4-byte Folded Reload
	s_waitcnt vmcnt(0)
	v_fmac_f64_e32 v[46:47], v[32:33], v[36:37]
	buffer_load_dword v36, off, s[96:99], 0 offset:344 ; 4-byte Folded Reload
	buffer_load_dword v37, off, s[96:99], 0 offset:348 ; 4-byte Folded Reload
	s_waitcnt vmcnt(0)
	v_fmac_f64_e32 v[36:37], v[32:33], v[46:47]
	v_fma_f64 v[36:37], v[32:33], v[36:37], 1.0
	v_fma_f64 v[32:33], v[32:33], v[36:37], 1.0
	v_ldexp_f64 v[12:13], v[32:33], v12
	v_mov_b32_e32 v36, 0x7ff00000
	v_cndmask_b32_e64 v31, v12, 0, vcc
	v_cndmask_b32_e32 v32, v13, v36, vcc
	v_and_b32_e32 v13, 0x7fffffff, v13
	v_cndmask_b32_e64 v3, 0, v32, s[0:1]
	v_cndmask_b32_e64 v2, 0, v31, s[0:1]
	v_cmp_eq_f64_e64 s[2:3], s[46:47], v[12:13]
	v_pk_mov_b32 v[32:33], v[2:3], v[2:3] op_sel:[0,1]
	s_or_b64 s[2:3], vcc, s[2:3]
	v_fmac_f64_e32 v[32:33], v[32:33], v[4:5]
	s_and_b64 vcc, s[0:1], s[2:3]
	v_cndmask_b32_e32 v12, v32, v2, vcc
	v_cndmask_b32_e32 v13, v33, v3, vcc
	v_trunc_f64_e32 v[2:3], v[20:21]
	v_cmp_eq_f64_e32 vcc, v[2:3], v[20:21]
	v_mul_f64 v[2:3], v[20:21], 0.5
	v_trunc_f64_e32 v[4:5], v[2:3]
	v_cmp_neq_f64_e64 s[0:1], v[4:5], v[2:3]
	s_and_b64 s[0:1], vcc, s[0:1]
	v_cndmask_b32_e64 v2, v49, v41, s[0:1]
	v_bfi_b32 v2, s10, v13, v2
	v_cndmask_b32_e32 v3, v120, v2, vcc
	v_cndmask_b32_e32 v4, 0, v12, vcc
	v_cmp_gt_f64_e32 vcc, 0, v[40:41]
	v_cndmask_b32_e32 v4, v12, v4, vcc
	v_cndmask_b32_e32 v2, v2, v3, vcc
	v_cmp_eq_f64_e32 vcc, 0, v[40:41]
	v_cmp_class_f64_e64 s[2:3], v[40:41], s11
	v_cndmask_b32_e64 v3, v36, 0, vcc
	v_cndmask_b32_e64 v5, 0, v41, s[0:1]
	v_bfi_b32 v3, s10, v3, v5
	s_or_b64 vcc, vcc, s[2:3]
	v_cndmask_b32_e32 v3, v2, v3, vcc
	v_cndmask_b32_e64 v2, v4, 0, vcc
	v_cmp_o_f64_e32 vcc, v[40:41], v[40:41]
	buffer_load_dword v40, off, s[96:99], 0 offset:384 ; 4-byte Folded Reload
	buffer_load_dword v41, off, s[96:99], 0 offset:388 ; 4-byte Folded Reload
	v_cndmask_b32_e32 v2, 0, v2, vcc
	v_cndmask_b32_e32 v3, v120, v3, vcc
	v_cmp_gt_f64_e32 vcc, s[6:7], v[2:3]
	v_cndmask_b32_e64 v4, 0, 1, vcc
	v_lshlrev_b32_e32 v4, 8, v4
	v_ldexp_f64 v[2:3], v[2:3], v4
	v_rsq_f64_e32 v[4:5], v[2:3]
	v_add_f64 v[12:13], v[8:9], 1.0
	v_fma_f64 v[12:13], v[38:39], v[12:13], 1.0
	v_mov_b32_e32 v21, 0x260
	s_waitcnt vmcnt(0)
	v_mul_f64 v[76:77], v[40:41], v[12:13]
	v_mul_f64 v[12:13], v[2:3], v[4:5]
	v_mul_f64 v[4:5], v[4:5], 0.5
	v_fma_f64 v[32:33], -v[4:5], v[12:13], 0.5
	v_fmac_f64_e32 v[12:13], v[12:13], v[32:33]
	v_fma_f64 v[36:37], -v[12:13], v[12:13], v[2:3]
	v_fmac_f64_e32 v[4:5], v[4:5], v[32:33]
	v_fmac_f64_e32 v[12:13], v[36:37], v[4:5]
	v_div_scale_f64 v[36:37], s[0:1], v[118:119], v[118:119], v[40:41]
	v_rcp_f64_e32 v[38:39], v[36:37]
	v_fma_f64 v[32:33], -v[12:13], v[12:13], v[2:3]
	v_fmac_f64_e32 v[12:13], v[32:33], v[4:5]
	v_mov_b32_e32 v4, 0xffffff80
	v_cndmask_b32_e32 v4, 0, v4, vcc
	v_ldexp_f64 v[4:5], v[12:13], v4
	v_fma_f64 v[12:13], -v[36:37], v[38:39], 1.0
	v_fmac_f64_e32 v[38:39], v[38:39], v[12:13]
	v_fma_f64 v[12:13], -v[36:37], v[38:39], 1.0
	v_fmac_f64_e32 v[38:39], v[38:39], v[12:13]
	v_div_scale_f64 v[12:13], vcc, v[40:41], v[118:119], v[40:41]
	v_mul_f64 v[32:33], v[12:13], v[38:39]
	v_fma_f64 v[12:13], -v[36:37], v[32:33], v[12:13]
	s_nop 1
	v_div_fmas_f64 v[12:13], v[12:13], v[38:39], v[32:33]
	v_cmp_class_f64_e32 vcc, v[2:3], v21
	v_cndmask_b32_e32 v3, v5, v3, vcc
	v_cndmask_b32_e32 v2, v4, v2, vcc
	buffer_load_dword v4, off, s[96:99], 0 offset:392 ; 4-byte Folded Reload
	buffer_load_dword v5, off, s[96:99], 0 offset:396 ; 4-byte Folded Reload
	v_div_fixup_f64 v[12:13], v[12:13], v[118:119], v[40:41]
	v_div_scale_f64 v[32:33], s[0:1], v[118:119], v[118:119], v[12:13]
	v_rcp_f64_e32 v[36:37], v[32:33]
	s_waitcnt vmcnt(0)
	v_mul_f64 v[74:75], v[2:3], -v[4:5]
	v_fma_f64 v[2:3], -v[32:33], v[36:37], 1.0
	v_fmac_f64_e32 v[36:37], v[36:37], v[2:3]
	v_fma_f64 v[2:3], -v[32:33], v[36:37], 1.0
	v_fmac_f64_e32 v[36:37], v[36:37], v[2:3]
	v_div_scale_f64 v[2:3], vcc, v[12:13], v[118:119], v[12:13]
	v_mul_f64 v[4:5], v[2:3], v[36:37]
	v_fma_f64 v[2:3], -v[32:33], v[4:5], v[2:3]
	s_nop 1
	v_div_fmas_f64 v[2:3], v[2:3], v[36:37], v[4:5]
	buffer_load_dword v4, off, s[96:99], 0 offset:400 ; 4-byte Folded Reload
	buffer_load_dword v5, off, s[96:99], 0 offset:404 ; 4-byte Folded Reload
	v_div_fixup_f64 v[2:3], v[2:3], v[118:119], v[12:13]
	s_waitcnt vmcnt(0)
	v_fma_f64 v[4:5], s[12:13], v[8:9], v[4:5]
	v_mul_f64 v[92:93], v[2:3], v[4:5]
.LBB1_160:                              ;   in Loop: Header=BB1_79 Depth=1
	s_or_b64 exec, exec, s[8:9]
                                        ; implicit-def: $vgpr47
                                        ; implicit-def: $vgpr60_vgpr61
                                        ; implicit-def: $vgpr52_vgpr53
	s_and_saveexec_b64 s[0:1], s[4:5]
	s_xor_b64 s[2:3], exec, s[0:1]
	s_cbranch_execz .LBB1_162
; %bb.161:                              ;   in Loop: Header=BB1_79 Depth=1
	v_cmp_ge_f64_e64 vcc, |v[102:103]|, s[64:65]
	v_cndmask_b32_e32 v3, v48, v83, vcc
	v_cndmask_b32_e32 v2, v102, v82, vcc
	v_mul_f64 v[8:9], v[62:63], v[2:3]
	v_mul_f64 v[4:5], v[58:59], v[2:3]
	v_fma_f64 v[12:13], v[62:63], v[2:3], -v[8:9]
	v_add_f64 v[32:33], v[4:5], v[12:13]
	v_add_f64 v[36:37], v[8:9], v[32:33]
	v_ldexp_f64 v[38:39], v[36:37], -2
	v_fract_f64_e32 v[40:41], v[38:39]
	v_cmp_neq_f64_e64 vcc, |v[38:39]|, s[46:47]
	v_cndmask_b32_e32 v39, 0, v41, vcc
	v_cndmask_b32_e32 v38, 0, v40, vcc
	v_add_f64 v[40:41], v[32:33], -v[4:5]
	v_add_f64 v[12:13], v[12:13], -v[40:41]
	;; [unrolled: 1-line block ×4, first 2 shown]
	v_add_f64 v[12:13], v[12:13], v[40:41]
	v_fma_f64 v[4:5], v[58:59], v[2:3], -v[4:5]
	v_mul_f64 v[40:41], v[0:1], v[2:3]
	v_add_f64 v[46:47], v[40:41], v[4:5]
	v_add_f64 v[50:51], v[46:47], v[12:13]
	v_add_f64 v[8:9], v[36:37], -v[8:9]
	v_add_f64 v[36:37], v[50:51], -v[46:47]
	;; [unrolled: 1-line block ×5, first 2 shown]
	v_add_f64 v[12:13], v[12:13], v[36:37]
	v_add_f64 v[36:37], v[46:47], -v[40:41]
	v_add_f64 v[4:5], v[4:5], -v[36:37]
	;; [unrolled: 1-line block ×5, first 2 shown]
	v_add_f64 v[32:33], v[8:9], v[50:51]
	v_add_f64 v[4:5], v[4:5], v[36:37]
	v_add_f64 v[8:9], v[32:33], -v[8:9]
	v_add_f64 v[4:5], v[4:5], v[12:13]
	v_fma_f64 v[2:3], v[0:1], v[2:3], -v[40:41]
	v_add_f64 v[8:9], v[50:51], -v[8:9]
	v_add_f64 v[2:3], v[2:3], v[4:5]
	v_ldexp_f64 v[4:5], v[38:39], 2
	v_add_f64 v[2:3], v[8:9], v[2:3]
	v_add_f64 v[8:9], v[32:33], v[4:5]
	v_cmp_gt_f64_e32 vcc, 0, v[8:9]
	v_mov_b32_e32 v8, 0x40100000
	v_cndmask_b32_e32 v21, 0, v8, vcc
	v_add_f64 v[4:5], v[4:5], v[20:21]
	v_add_f64 v[8:9], v[32:33], v[4:5]
	v_cvt_i32_f64_e32 v12, v[8:9]
	v_cvt_f64_i32_e32 v[8:9], v12
	v_add_f64 v[4:5], v[4:5], -v[8:9]
	v_add_f64 v[8:9], v[32:33], v[4:5]
	v_add_f64 v[4:5], v[8:9], -v[4:5]
	v_cmp_le_f64_e32 vcc, 0.5, v[8:9]
	v_add_f64 v[4:5], v[32:33], -v[4:5]
	v_cndmask_b32_e32 v21, 0, v126, vcc
	v_add_f64 v[2:3], v[2:3], v[4:5]
	v_add_f64 v[4:5], v[8:9], -v[20:21]
	v_add_f64 v[8:9], v[4:5], v[2:3]
	v_add_f64 v[4:5], v[8:9], -v[4:5]
	s_mov_b32 s16, s14
	v_add_f64 v[2:3], v[2:3], -v[4:5]
	v_mul_f64 v[4:5], v[8:9], s[16:17]
	v_addc_co_u32_e64 v47, s[0:1], 0, v12, vcc
	v_fma_f64 v[12:13], v[8:9], s[16:17], -v[4:5]
	s_mov_b32 s79, s77
	v_fmac_f64_e32 v[12:13], s[78:79], v[8:9]
	v_fmac_f64_e32 v[12:13], s[16:17], v[2:3]
	v_add_f64 v[60:61], v[4:5], v[12:13]
	v_add_f64 v[2:3], v[60:61], -v[4:5]
	v_add_f64 v[52:53], v[12:13], -v[2:3]
	s_andn2_saveexec_b64 s[0:1], s[2:3]
	s_cbranch_execz .LBB1_164
	s_branch .LBB1_163
.LBB1_162:                              ;   in Loop: Header=BB1_79 Depth=1
	s_andn2_saveexec_b64 s[0:1], s[2:3]
	s_cbranch_execz .LBB1_164
.LBB1_163:                              ;   in Loop: Header=BB1_79 Depth=1
	v_mul_f64 v[2:3], |v[102:103]|, s[80:81]
	v_rndne_f64_e32 v[2:3], v[2:3]
	v_fma_f64 v[4:5], v[2:3], s[14:15], |v[102:103]|
	v_mul_f64 v[12:13], v[2:3], s[82:83]
	v_add_f64 v[36:37], v[4:5], v[12:13]
	v_fma_f64 v[8:9], s[82:83], v[2:3], v[4:5]
	s_mov_b32 s76, s82
	v_add_f64 v[4:5], v[4:5], -v[36:37]
	v_fma_f64 v[32:33], s[76:77], v[2:3], v[12:13]
	v_add_f64 v[4:5], v[4:5], v[12:13]
	v_add_f64 v[12:13], v[36:37], -v[8:9]
	v_add_f64 v[4:5], v[12:13], v[4:5]
	v_add_f64 v[4:5], v[4:5], -v[32:33]
	v_fmac_f64_e32 v[4:5], s[88:89], v[2:3]
	v_add_f64 v[60:61], v[8:9], v[4:5]
	v_add_f64 v[8:9], v[60:61], -v[8:9]
	v_add_f64 v[52:53], v[4:5], -v[8:9]
	v_cvt_i32_f64_e32 v47, v[2:3]
.LBB1_164:                              ;   in Loop: Header=BB1_79 Depth=1
	s_or_b64 exec, exec, s[0:1]
                                        ; implicit-def: $vgpr46
                                        ; implicit-def: $vgpr78_vgpr79
                                        ; implicit-def: $vgpr80_vgpr81
	s_and_saveexec_b64 s[0:1], s[4:5]
	s_xor_b64 s[2:3], exec, s[0:1]
	s_cbranch_execz .LBB1_166
; %bb.165:                              ;   in Loop: Header=BB1_79 Depth=1
	v_cmp_ge_f64_e64 vcc, |v[102:103]|, s[64:65]
	v_cndmask_b32_e32 v3, v48, v83, vcc
	v_cndmask_b32_e32 v2, v102, v82, vcc
	v_mul_f64 v[8:9], v[62:63], v[2:3]
	v_mul_f64 v[4:5], v[58:59], v[2:3]
	v_fma_f64 v[12:13], v[62:63], v[2:3], -v[8:9]
	v_add_f64 v[32:33], v[4:5], v[12:13]
	v_add_f64 v[36:37], v[8:9], v[32:33]
	v_ldexp_f64 v[38:39], v[36:37], -2
	v_fract_f64_e32 v[40:41], v[38:39]
	v_cmp_neq_f64_e64 vcc, |v[38:39]|, s[46:47]
	v_cndmask_b32_e32 v39, 0, v41, vcc
	v_cndmask_b32_e32 v38, 0, v40, vcc
	v_add_f64 v[40:41], v[32:33], -v[4:5]
	v_add_f64 v[12:13], v[12:13], -v[40:41]
	;; [unrolled: 1-line block ×4, first 2 shown]
	v_add_f64 v[12:13], v[12:13], v[40:41]
	v_fma_f64 v[4:5], v[58:59], v[2:3], -v[4:5]
	v_mul_f64 v[40:41], v[0:1], v[2:3]
	v_add_f64 v[48:49], v[40:41], v[4:5]
	v_add_f64 v[50:51], v[48:49], v[12:13]
	v_add_f64 v[8:9], v[36:37], -v[8:9]
	v_add_f64 v[36:37], v[50:51], -v[48:49]
	;; [unrolled: 1-line block ×5, first 2 shown]
	v_add_f64 v[12:13], v[12:13], v[36:37]
	v_add_f64 v[36:37], v[48:49], -v[40:41]
	v_add_f64 v[4:5], v[4:5], -v[36:37]
	;; [unrolled: 1-line block ×5, first 2 shown]
	v_add_f64 v[4:5], v[4:5], v[36:37]
	v_add_f64 v[32:33], v[8:9], v[50:51]
	;; [unrolled: 1-line block ×3, first 2 shown]
	v_fma_f64 v[0:1], v[0:1], v[2:3], -v[40:41]
	v_ldexp_f64 v[2:3], v[38:39], 2
	v_add_f64 v[0:1], v[0:1], v[4:5]
	v_add_f64 v[4:5], v[32:33], v[2:3]
	v_cmp_gt_f64_e32 vcc, 0, v[4:5]
	v_mov_b32_e32 v4, 0x40100000
	v_cndmask_b32_e32 v21, 0, v4, vcc
	v_add_f64 v[8:9], v[32:33], -v[8:9]
	v_add_f64 v[2:3], v[2:3], v[20:21]
	v_add_f64 v[8:9], v[50:51], -v[8:9]
	v_add_f64 v[4:5], v[32:33], v[2:3]
	v_add_f64 v[0:1], v[8:9], v[0:1]
	v_cvt_i32_f64_e32 v8, v[4:5]
	v_cvt_f64_i32_e32 v[4:5], v8
	v_add_f64 v[2:3], v[2:3], -v[4:5]
	v_add_f64 v[4:5], v[32:33], v[2:3]
	v_add_f64 v[2:3], v[4:5], -v[2:3]
	v_cmp_le_f64_e32 vcc, 0.5, v[4:5]
	v_add_f64 v[2:3], v[32:33], -v[2:3]
	v_cndmask_b32_e32 v21, 0, v126, vcc
	v_add_f64 v[0:1], v[0:1], v[2:3]
	v_add_f64 v[2:3], v[4:5], -v[20:21]
	v_add_f64 v[4:5], v[2:3], v[0:1]
	v_add_f64 v[2:3], v[4:5], -v[2:3]
	s_mov_b32 s16, s14
	v_add_f64 v[0:1], v[0:1], -v[2:3]
	v_mul_f64 v[2:3], v[4:5], s[16:17]
	v_addc_co_u32_e64 v46, s[0:1], 0, v8, vcc
	v_fma_f64 v[8:9], v[4:5], s[16:17], -v[2:3]
	s_mov_b32 s79, s77
	v_fmac_f64_e32 v[8:9], s[78:79], v[4:5]
	v_fmac_f64_e32 v[8:9], s[16:17], v[0:1]
	v_add_f64 v[78:79], v[2:3], v[8:9]
	v_add_f64 v[0:1], v[78:79], -v[2:3]
	v_add_f64 v[80:81], v[8:9], -v[0:1]
	s_andn2_saveexec_b64 s[0:1], s[2:3]
	s_cbranch_execnz .LBB1_167
	s_branch .LBB1_168
.LBB1_166:                              ;   in Loop: Header=BB1_79 Depth=1
	s_andn2_saveexec_b64 s[0:1], s[2:3]
	s_cbranch_execz .LBB1_168
.LBB1_167:                              ;   in Loop: Header=BB1_79 Depth=1
	v_mul_f64 v[0:1], |v[102:103]|, s[80:81]
	v_rndne_f64_e32 v[0:1], v[0:1]
	v_fma_f64 v[2:3], v[0:1], s[14:15], |v[102:103]|
	v_mul_f64 v[8:9], v[0:1], s[82:83]
	v_add_f64 v[32:33], v[2:3], v[8:9]
	v_fma_f64 v[4:5], s[82:83], v[0:1], v[2:3]
	s_mov_b32 s76, s82
	v_add_f64 v[2:3], v[2:3], -v[32:33]
	v_fma_f64 v[12:13], s[76:77], v[0:1], v[8:9]
	v_add_f64 v[2:3], v[2:3], v[8:9]
	v_add_f64 v[8:9], v[32:33], -v[4:5]
	v_add_f64 v[2:3], v[8:9], v[2:3]
	v_add_f64 v[2:3], v[2:3], -v[12:13]
	v_fmac_f64_e32 v[2:3], s[88:89], v[0:1]
	v_add_f64 v[78:79], v[4:5], v[2:3]
	v_add_f64 v[4:5], v[78:79], -v[4:5]
	v_add_f64 v[80:81], v[2:3], -v[4:5]
	v_cvt_i32_f64_e32 v46, v[0:1]
.LBB1_168:                              ;   in Loop: Header=BB1_79 Depth=1
	s_or_b64 exec, exec, s[0:1]
	v_readlane_b32 s0, v127, 22
	v_frexp_mant_f64_e64 v[0:1], |v[118:119]|
	v_readlane_b32 s1, v127, 23
	s_mov_b32 s0, s34
	v_cmp_gt_f64_e32 vcc, s[0:1], v[0:1]
	v_mov_b32_e32 v31, 0x3ff00000
	v_cndmask_b32_e64 v21, v31, 2.0, vcc
	v_frexp_exp_i32_f64_e32 v2, v[118:119]
	v_mul_f64 v[0:1], v[0:1], v[20:21]
	v_subbrev_co_u32_e32 v21, vcc, 0, v2, vcc
	v_add_f64 v[2:3], v[0:1], 1.0
	v_rcp_f64_e32 v[4:5], v[2:3]
	v_add_f64 v[12:13], v[2:3], -1.0
	v_add_f64 v[8:9], v[0:1], -1.0
	v_add_f64 v[0:1], v[0:1], -v[12:13]
	v_fma_f64 v[12:13], -v[2:3], v[4:5], 1.0
	v_fmac_f64_e32 v[4:5], v[12:13], v[4:5]
	v_fma_f64 v[12:13], -v[2:3], v[4:5], 1.0
	v_fmac_f64_e32 v[4:5], v[12:13], v[4:5]
	v_mul_f64 v[12:13], v[8:9], v[4:5]
	v_mul_f64 v[32:33], v[2:3], v[12:13]
	v_fma_f64 v[2:3], v[12:13], v[2:3], -v[32:33]
	v_fmac_f64_e32 v[2:3], v[12:13], v[0:1]
	v_add_f64 v[0:1], v[32:33], v[2:3]
	v_add_f64 v[36:37], v[8:9], -v[0:1]
	v_add_f64 v[32:33], v[0:1], -v[32:33]
	v_add_f64 v[8:9], v[8:9], -v[36:37]
	v_add_f64 v[0:1], v[8:9], -v[0:1]
	v_add_f64 v[2:3], v[32:33], -v[2:3]
	v_add_f64 v[0:1], v[2:3], v[0:1]
	v_add_f64 v[0:1], v[36:37], v[0:1]
	v_mul_f64 v[0:1], v[4:5], v[0:1]
	v_add_f64 v[2:3], v[12:13], v[0:1]
	v_add_f64 v[4:5], v[2:3], -v[12:13]
	v_add_f64 v[0:1], v[0:1], -v[4:5]
	v_mul_f64 v[4:5], v[2:3], v[2:3]
	v_fma_f64 v[8:9], v[2:3], v[2:3], -v[4:5]
	v_add_f64 v[12:13], v[0:1], v[0:1]
	v_fmac_f64_e32 v[8:9], v[2:3], v[12:13]
	v_add_f64 v[12:13], v[4:5], v[8:9]
	v_add_f64 v[4:5], v[12:13], -v[4:5]
	v_add_f64 v[4:5], v[8:9], -v[4:5]
	buffer_load_dword v8, off, s[96:99], 0 offset:256 ; 4-byte Folded Reload
	buffer_load_dword v9, off, s[96:99], 0 offset:260 ; 4-byte Folded Reload
	;; [unrolled: 1-line block ×4, first 2 shown]
	s_mov_b32 s2, 0x4222de17
	s_mov_b32 s3, 0x3fbdee67
	;; [unrolled: 1-line block ×3, first 2 shown]
	v_mul_f64 v[48:49], v[2:3], v[12:13]
	s_mov_b32 s5, 0x3c7abc9e
	v_fma_f64 v[50:51], v[12:13], v[2:3], -v[48:49]
	v_fmac_f64_e32 v[50:51], v[12:13], v[0:1]
	v_fmac_f64_e32 v[50:51], v[4:5], v[2:3]
	v_ldexp_f64 v[40:41], v[0:1], 1
	v_add_f64 v[0:1], v[48:49], v[50:51]
	s_mov_b32 s79, s1
	v_cmp_eq_f64_e64 s[8:9], 1.0, v[118:119]
	v_cmp_eq_f64_e64 s[6:7], 0, v[118:119]
	s_movk_i32 s16, 0x204
                                        ; implicit-def: $vgpr58_vgpr59
	s_waitcnt vmcnt(2)
	v_fmac_f64_e32 v[8:9], s[2:3], v[12:13]
	s_waitcnt vmcnt(0)
	v_fmac_f64_e32 v[32:33], v[12:13], v[8:9]
	buffer_load_dword v8, off, s[96:99], 0 offset:272 ; 4-byte Folded Reload
	buffer_load_dword v9, off, s[96:99], 0 offset:276 ; 4-byte Folded Reload
	s_mov_b32 s2, 0xfefa39ef
	s_mov_b32 s3, 0x3fe62e42
	s_waitcnt vmcnt(0)
	v_fmac_f64_e32 v[8:9], v[12:13], v[32:33]
	buffer_load_dword v32, off, s[96:99], 0 offset:280 ; 4-byte Folded Reload
	buffer_load_dword v33, off, s[96:99], 0 offset:284 ; 4-byte Folded Reload
	s_waitcnt vmcnt(0)
	v_fmac_f64_e32 v[32:33], v[12:13], v[8:9]
	buffer_load_dword v8, off, s[96:99], 0 offset:288 ; 4-byte Folded Reload
	buffer_load_dword v9, off, s[96:99], 0 offset:292 ; 4-byte Folded Reload
	;; [unrolled: 4-line block ×5, first 2 shown]
	s_waitcnt vmcnt(0)
	v_fmac_f64_e32 v[32:33], v[12:13], v[8:9]
	v_cvt_f64_i32_e32 v[8:9], v21
	v_mul_f64 v[36:37], v[8:9], s[2:3]
	v_fma_f64 v[38:39], v[8:9], s[2:3], -v[36:37]
	v_fmac_f64_e32 v[38:39], s[4:5], v[8:9]
	v_add_f64 v[8:9], v[36:37], v[38:39]
	v_add_f64 v[36:37], v[8:9], -v[36:37]
	v_add_f64 v[36:37], v[38:39], -v[36:37]
	v_ldexp_f64 v[38:39], v[2:3], 1
	v_add_f64 v[2:3], v[0:1], -v[48:49]
	v_mul_f64 v[48:49], v[12:13], v[32:33]
	v_fma_f64 v[12:13], v[12:13], v[32:33], -v[48:49]
	v_fmac_f64_e32 v[12:13], v[4:5], v[32:33]
	v_add_f64 v[4:5], v[48:49], v[12:13]
	v_add_f64 v[32:33], v[4:5], -v[48:49]
	v_add_f64 v[12:13], v[12:13], -v[32:33]
	v_add_f64 v[32:33], v[4:5], s[0:1]
	v_readlane_b32 s0, v127, 10
	v_readlane_b32 s1, v127, 11
	s_mov_b32 s0, s34
	s_mov_b32 s3, s1
	v_add_f64 v[48:49], v[32:33], s[0:1]
	s_mov_b32 s0, 0xd5df274d
	s_mov_b32 s1, 0x3c8543b0
	v_add_f64 v[4:5], v[4:5], -v[48:49]
	v_add_f64 v[12:13], v[12:13], s[0:1]
	v_add_f64 v[4:5], v[12:13], v[4:5]
	;; [unrolled: 1-line block ×3, first 2 shown]
	v_add_f64 v[32:33], v[32:33], -v[12:13]
	v_add_f64 v[4:5], v[4:5], v[32:33]
	v_mul_f64 v[32:33], v[0:1], v[12:13]
	v_fma_f64 v[48:49], v[0:1], v[12:13], -v[32:33]
	v_add_f64 v[2:3], v[50:51], -v[2:3]
	v_fmac_f64_e32 v[48:49], v[0:1], v[4:5]
	v_fmac_f64_e32 v[48:49], v[2:3], v[12:13]
	v_add_f64 v[0:1], v[32:33], v[48:49]
	v_add_f64 v[2:3], v[0:1], -v[32:33]
	v_add_f64 v[4:5], v[38:39], v[0:1]
	v_add_f64 v[2:3], v[48:49], -v[2:3]
	v_add_f64 v[12:13], v[4:5], -v[38:39]
	;; [unrolled: 1-line block ×3, first 2 shown]
	v_add_f64 v[2:3], v[40:41], v[2:3]
	v_add_f64 v[0:1], v[2:3], v[0:1]
	;; [unrolled: 1-line block ×3, first 2 shown]
	v_add_f64 v[4:5], v[2:3], -v[4:5]
	v_add_f64 v[0:1], v[0:1], -v[4:5]
	v_add_f64 v[4:5], v[8:9], v[2:3]
	v_add_f64 v[12:13], v[4:5], -v[8:9]
	v_add_f64 v[32:33], v[4:5], -v[12:13]
	;; [unrolled: 1-line block ×4, first 2 shown]
	v_add_f64 v[2:3], v[2:3], v[8:9]
	v_add_f64 v[8:9], v[36:37], v[0:1]
	v_add_f64 v[12:13], v[8:9], -v[36:37]
	v_add_f64 v[32:33], v[8:9], -v[12:13]
	;; [unrolled: 1-line block ×4, first 2 shown]
	v_add_f64 v[0:1], v[0:1], v[32:33]
	buffer_load_dword v32, off, s[96:99], 0 offset:304 ; 4-byte Folded Reload
	buffer_load_dword v33, off, s[96:99], 0 offset:308 ; 4-byte Folded Reload
	;; [unrolled: 1-line block ×4, first 2 shown]
	v_add_f64 v[2:3], v[8:9], v[2:3]
	v_add_f64 v[8:9], v[4:5], v[2:3]
	v_add_f64 v[4:5], v[8:9], -v[4:5]
	v_add_f64 v[2:3], v[2:3], -v[4:5]
	v_add_f64 v[0:1], v[0:1], v[2:3]
	v_add_f64 v[82:83], v[8:9], v[0:1]
	v_add_f64 v[2:3], v[82:83], -v[8:9]
	v_writelane_b32 v127, s2, 10
	v_add_f64 v[90:91], v[0:1], -v[2:3]
	v_mov_b32_e32 v0, 0xbfeae147
	v_writelane_b32 v127, s3, 11
	v_cndmask_b32_e64 v1, v0, v31, s[8:9]
	v_mov_b32_e32 v0, 0xae147ae1
	v_writelane_b32 v127, s8, 38
	v_cndmask_b32_e64 v0, v0, 0, s[8:9]
	v_mul_f64 v[2:3], v[0:1], v[82:83]
	v_fma_f64 v[4:5], v[0:1], v[82:83], -v[2:3]
	s_movk_i32 s3, 0x204
	v_writelane_b32 v127, s9, 39
	v_fmac_f64_e32 v[4:5], v[0:1], v[90:91]
	v_add_f64 v[8:9], v[2:3], v[4:5]
	v_cmp_class_f64_e64 vcc, v[2:3], s3
	v_readlane_b32 s8, v127, 12
	v_add_f64 v[12:13], v[8:9], -v[2:3]
	v_cndmask_b32_e32 v3, v9, v3, vcc
	v_cndmask_b32_e32 v2, v8, v2, vcc
	v_readlane_b32 s9, v127, 13
	v_mul_f64 v[8:9], v[2:3], s[8:9]
	v_readlane_b32 s8, v127, 14
	v_readlane_b32 s9, v127, 15
	v_cmp_class_f64_e64 s[0:1], v[118:119], s3
	v_rndne_f64_e32 v[8:9], v[8:9]
	s_mov_b32 s3, s9
	v_add_f64 v[4:5], v[4:5], -v[12:13]
	v_fma_f64 v[12:13], s[2:3], v[8:9], v[2:3]
	v_readlane_b32 s2, v127, 16
	v_readlane_b32 s3, v127, 17
	s_mov_b32 s5, s3
	v_writelane_b32 v127, s2, 16
	v_writelane_b32 v127, s3, 17
	s_mov_b32 s2, 0x6a5dcb37
	v_fmac_f64_e32 v[12:13], s[4:5], v[8:9]
	s_mov_b32 s3, 0x3e5ade15
	v_cmp_neq_f64_e64 vcc, |v[2:3]|, s[46:47]
	v_cndmask_b32_e32 v5, 0, v5, vcc
	v_cndmask_b32_e32 v4, 0, v4, vcc
	v_cvt_i32_f64_e32 v8, v[8:9]
	v_mov_b32_e32 v21, 0x7ff00000
	s_brev_b32 s8, -2
	s_mov_b32 s37, s9
	s_waitcnt vmcnt(2)
	v_fmac_f64_e32 v[32:33], s[2:3], v[12:13]
	s_waitcnt vmcnt(0)
	v_fmac_f64_e32 v[36:37], v[12:13], v[32:33]
	buffer_load_dword v32, off, s[96:99], 0 offset:320 ; 4-byte Folded Reload
	buffer_load_dword v33, off, s[96:99], 0 offset:324 ; 4-byte Folded Reload
	s_mov_b32 s2, 0
	s_mov_b32 s3, 0x40900000
	v_cmp_lt_f64_e32 vcc, s[2:3], v[2:3]
	s_mov_b32 s2, 0
	s_mov_b32 s3, 0xc090cc00
	v_cmp_ngt_f64_e64 s[2:3], s[2:3], v[2:3]
	s_waitcnt vmcnt(0)
	v_fmac_f64_e32 v[32:33], v[12:13], v[36:37]
	buffer_load_dword v36, off, s[96:99], 0 offset:328 ; 4-byte Folded Reload
	buffer_load_dword v37, off, s[96:99], 0 offset:332 ; 4-byte Folded Reload
	s_waitcnt vmcnt(0)
	v_fmac_f64_e32 v[36:37], v[12:13], v[32:33]
	buffer_load_dword v32, off, s[96:99], 0 offset:336 ; 4-byte Folded Reload
	buffer_load_dword v33, off, s[96:99], 0 offset:340 ; 4-byte Folded Reload
	;; [unrolled: 4-line block ×3, first 2 shown]
	buffer_load_dword v38, off, s[96:99], 0 offset:208 ; 4-byte Folded Reload
	buffer_load_dword v39, off, s[96:99], 0 offset:212 ; 4-byte Folded Reload
	s_waitcnt vmcnt(1)
	v_mov_b32_e32 v36, v38
	s_waitcnt vmcnt(0)
	buffer_store_dword v38, off, s[96:99], 0 offset:208 ; 4-byte Folded Spill
	s_nop 0
	buffer_store_dword v39, off, s[96:99], 0 offset:212 ; 4-byte Folded Spill
	v_fmac_f64_e32 v[36:37], v[12:13], v[32:33]
	buffer_load_dword v32, off, s[96:99], 0 offset:112 ; 4-byte Folded Reload
	buffer_load_dword v33, off, s[96:99], 0 offset:116 ; 4-byte Folded Reload
	buffer_load_dword v38, off, s[96:99], 0 offset:216 ; 4-byte Folded Reload
	buffer_load_dword v39, off, s[96:99], 0 offset:220 ; 4-byte Folded Reload
	s_waitcnt vmcnt(1)
	v_mov_b32_e32 v32, v38
	s_waitcnt vmcnt(0)
	buffer_store_dword v38, off, s[96:99], 0 offset:216 ; 4-byte Folded Spill
	s_nop 0
	buffer_store_dword v39, off, s[96:99], 0 offset:220 ; 4-byte Folded Spill
	v_fmac_f64_e32 v[32:33], v[12:13], v[36:37]
	buffer_load_dword v36, off, s[96:99], 0 offset:248 ; 4-byte Folded Reload
	buffer_load_dword v37, off, s[96:99], 0 offset:252 ; 4-byte Folded Reload
	s_waitcnt vmcnt(0)
	v_fmac_f64_e32 v[36:37], v[12:13], v[32:33]
	buffer_load_dword v32, off, s[96:99], 0 offset:344 ; 4-byte Folded Reload
	buffer_load_dword v33, off, s[96:99], 0 offset:348 ; 4-byte Folded Reload
	s_waitcnt vmcnt(0)
	v_fmac_f64_e32 v[32:33], v[12:13], v[36:37]
	v_fma_f64 v[32:33], v[12:13], v[32:33], 1.0
	v_fma_f64 v[12:13], v[12:13], v[32:33], 1.0
	v_ldexp_f64 v[8:9], v[12:13], v8
	v_cndmask_b32_e64 v12, v8, 0, vcc
	v_cndmask_b32_e32 v13, v9, v21, vcc
	v_and_b32_e32 v9, 0x7fffffff, v9
	v_cndmask_b32_e64 v3, 0, v13, s[2:3]
	v_cndmask_b32_e64 v2, 0, v12, s[2:3]
	v_cmp_eq_f64_e64 s[4:5], s[46:47], v[8:9]
	v_pk_mov_b32 v[12:13], v[2:3], v[2:3] op_sel:[0,1]
	s_or_b64 s[4:5], vcc, s[4:5]
	v_fmac_f64_e32 v[12:13], v[12:13], v[4:5]
	s_and_b64 vcc, s[2:3], s[4:5]
	v_mul_f64 v[4:5], v[0:1], 0.5
	v_cndmask_b32_e32 v12, v12, v2, vcc
	v_cndmask_b32_e32 v13, v13, v3, vcc
	v_trunc_f64_e32 v[2:3], v[0:1]
	v_trunc_f64_e32 v[8:9], v[4:5]
	v_cmp_neq_f64_e32 vcc, v[8:9], v[4:5]
	v_cmp_eq_f64_e64 s[2:3], v[2:3], v[0:1]
	s_and_b64 vcc, s[2:3], vcc
	v_cndmask_b32_e32 v3, v31, v119, vcc
	v_bfi_b32 v3, s8, v13, v3
	v_cndmask_b32_e64 v2, 0, v12, s[2:3]
	v_cndmask_b32_e64 v4, v120, v3, s[2:3]
	v_cmp_gt_f64_e64 s[2:3], 0, v[118:119]
	v_cndmask_b32_e64 v3, v3, v4, s[2:3]
	v_writelane_b32 v127, s2, 40
	v_writelane_b32 v127, s3, 41
	v_cmp_gt_f64_e64 s[4:5], 0, v[0:1]
	s_xor_b64 s[4:5], s[6:7], s[4:5]
	v_writelane_b32 v127, s6, 42
	v_cndmask_b32_e64 v2, v12, v2, s[2:3]
	v_cndmask_b32_e64 v0, v21, 0, s[4:5]
	v_cndmask_b32_e32 v1, 0, v119, vcc
	v_writelane_b32 v127, s7, 43
	s_or_b64 s[0:1], s[6:7], s[0:1]
	v_bfi_b32 v1, s8, v0, v1
	v_cndmask_b32_e64 v0, v2, 0, s[0:1]
	v_writelane_b32 v127, s0, 44
	v_writelane_b32 v127, s1, 45
	v_cndmask_b32_e64 v1, v3, v1, s[0:1]
	s_mov_b32 s0, 0x12000000
	s_mov_b32 s1, 0x4243ca65
	v_mul_f64 v[0:1], v[0:1], s[0:1]
	s_mov_b32 s0, 0x9cd9fbd6
	s_mov_b32 s1, 0x3ca3e5ba
	;; [unrolled: 1-line block ×3, first 2 shown]
	v_mul_f64 v[2:3], v[0:1], s[0:1]
	s_mov_b32 s9, 0x3a520b02
	v_div_scale_f64 v[4:5], s[0:1], s[8:9], s[8:9], v[2:3]
	v_rcp_f64_e32 v[8:9], v[4:5]
	v_mov_b32_e32 v36, 0x3ff00000
	v_mov_b32_e32 v31, 0x7ff00000
	v_fma_f64 v[12:13], -v[4:5], v[8:9], 1.0
	v_fmac_f64_e32 v[8:9], v[8:9], v[12:13]
	v_fma_f64 v[12:13], -v[4:5], v[8:9], 1.0
	v_fmac_f64_e32 v[8:9], v[8:9], v[12:13]
	v_div_scale_f64 v[12:13], vcc, v[2:3], s[8:9], v[2:3]
	v_mul_f64 v[32:33], v[12:13], v[8:9]
	v_fma_f64 v[4:5], -v[4:5], v[32:33], v[12:13]
	s_nop 1
	v_div_fmas_f64 v[4:5], v[4:5], v[8:9], v[32:33]
	v_div_fixup_f64 v[2:3], v[4:5], s[8:9], v[2:3]
	s_mov_b32 s8, 0xf3a00000
	s_mov_b32 s9, 0x421beb9b
	v_div_scale_f64 v[4:5], s[0:1], s[8:9], s[8:9], v[2:3]
	v_rcp_f64_e32 v[8:9], v[4:5]
	v_fma_f64 v[12:13], -v[4:5], v[8:9], 1.0
	v_fmac_f64_e32 v[8:9], v[8:9], v[12:13]
	v_fma_f64 v[12:13], -v[4:5], v[8:9], 1.0
	v_fmac_f64_e32 v[8:9], v[8:9], v[12:13]
	v_div_scale_f64 v[12:13], vcc, v[2:3], s[8:9], v[2:3]
	v_mul_f64 v[32:33], v[12:13], v[8:9]
	v_fma_f64 v[4:5], -v[4:5], v[32:33], v[12:13]
	s_nop 1
	v_div_fmas_f64 v[4:5], v[4:5], v[8:9], v[32:33]
	v_div_fixup_f64 v[2:3], v[4:5], s[8:9], v[2:3]
	v_div_scale_f64 v[4:5], s[0:1], s[8:9], s[8:9], v[2:3]
	v_rcp_f64_e32 v[8:9], v[4:5]
	s_mov_b32 s0, 0
	s_mov_b32 s1, 0x40554000
	v_fma_f64 v[12:13], -v[4:5], v[8:9], 1.0
	v_fmac_f64_e32 v[8:9], v[8:9], v[12:13]
	v_fma_f64 v[12:13], -v[4:5], v[8:9], 1.0
	v_fmac_f64_e32 v[8:9], v[8:9], v[12:13]
	v_div_scale_f64 v[12:13], vcc, v[2:3], s[8:9], v[2:3]
	v_mul_f64 v[32:33], v[12:13], v[8:9]
	v_fma_f64 v[4:5], -v[4:5], v[32:33], v[12:13]
	s_nop 1
	v_div_fmas_f64 v[4:5], v[4:5], v[8:9], v[32:33]
	v_div_fixup_f64 v[94:95], v[4:5], s[8:9], v[2:3]
	v_cmp_nlt_f64_e32 vcc, s[0:1], v[94:95]
	s_and_saveexec_b64 s[0:1], vcc
	s_xor_b64 s[10:11], exec, s[0:1]
	s_cbranch_execz .LBB1_172
; %bb.169:                              ;   in Loop: Header=BB1_79 Depth=1
	v_readlane_b32 s0, v127, 28
	v_readlane_b32 s1, v127, 29
	s_mov_b32 s0, s84
	v_writelane_b32 v127, s0, 28
	v_writelane_b32 v127, s1, 29
	v_cmp_ngt_f64_e32 vcc, s[0:1], v[94:95]
	s_mov_b32 s0, 0x238f6764
	s_mov_b32 s1, 0x3ef18354
	v_pk_mov_b32 v[58:59], s[0:1], s[0:1] op_sel:[0,1]
	s_and_saveexec_b64 s[2:3], vcc
	s_cbranch_execz .LBB1_171
; %bb.170:                              ;   in Loop: Header=BB1_79 Depth=1
	v_readlane_b32 s0, v127, 28
	v_readlane_b32 s1, v127, 29
	v_div_scale_f64 v[2:3], s[8:9], s[0:1], s[0:1], v[94:95]
	v_rcp_f64_e32 v[4:5], v[2:3]
	s_mov_b32 s9, s79
	s_mov_b32 s8, s34
	;; [unrolled: 1-line block ×3, first 2 shown]
	v_fma_f64 v[8:9], -v[2:3], v[4:5], 1.0
	v_fmac_f64_e32 v[4:5], v[4:5], v[8:9]
	v_fma_f64 v[8:9], -v[2:3], v[4:5], 1.0
	v_fmac_f64_e32 v[4:5], v[4:5], v[8:9]
	v_div_scale_f64 v[8:9], vcc, v[94:95], s[0:1], v[94:95]
	v_mul_f64 v[12:13], v[8:9], v[4:5]
	v_fma_f64 v[2:3], -v[2:3], v[12:13], v[8:9]
	s_mov_b32 s7, 0x3fe62e42
	s_nop 0
	v_div_fmas_f64 v[2:3], v[2:3], v[4:5], v[12:13]
	v_div_fixup_f64 v[8:9], v[2:3], s[0:1], v[94:95]
	v_frexp_mant_f64_e32 v[2:3], v[8:9]
	v_cmp_gt_f64_e32 vcc, s[8:9], v[2:3]
	v_cndmask_b32_e64 v21, v36, 2.0, vcc
	v_mul_f64 v[2:3], v[2:3], v[20:21]
	v_add_f64 v[12:13], v[2:3], 1.0
	v_frexp_exp_i32_f64_e32 v4, v[8:9]
	v_add_f64 v[32:33], v[12:13], -1.0
	v_subbrev_co_u32_e32 v21, vcc, 0, v4, vcc
	v_add_f64 v[4:5], v[2:3], -1.0
	v_add_f64 v[2:3], v[2:3], -v[32:33]
	v_rcp_f64_e32 v[32:33], v[12:13]
	s_mov_b32 s0, 0xbf559e2b
	s_mov_b32 s1, 0x3fc3ab76
	;; [unrolled: 1-line block ×3, first 2 shown]
	v_fma_f64 v[36:37], -v[12:13], v[32:33], 1.0
	v_fmac_f64_e32 v[32:33], v[36:37], v[32:33]
	v_fma_f64 v[36:37], -v[12:13], v[32:33], 1.0
	v_fmac_f64_e32 v[32:33], v[36:37], v[32:33]
	v_mul_f64 v[36:37], v[4:5], v[32:33]
	v_mul_f64 v[38:39], v[12:13], v[36:37]
	v_fma_f64 v[12:13], v[36:37], v[12:13], -v[38:39]
	v_fmac_f64_e32 v[12:13], v[36:37], v[2:3]
	v_add_f64 v[2:3], v[38:39], v[12:13]
	v_add_f64 v[40:41], v[4:5], -v[2:3]
	v_add_f64 v[38:39], v[2:3], -v[38:39]
	;; [unrolled: 1-line block ×5, first 2 shown]
	v_add_f64 v[2:3], v[4:5], v[2:3]
	v_add_f64 v[2:3], v[40:41], v[2:3]
	v_mul_f64 v[2:3], v[32:33], v[2:3]
	v_add_f64 v[4:5], v[36:37], v[2:3]
	buffer_load_dword v32, off, s[96:99], 0 offset:432 ; 4-byte Folded Reload
	buffer_load_dword v33, off, s[96:99], 0 offset:436 ; 4-byte Folded Reload
	v_add_f64 v[12:13], v[4:5], -v[36:37]
	buffer_load_dword v36, off, s[96:99], 0 offset:440 ; 4-byte Folded Reload
	buffer_load_dword v37, off, s[96:99], 0 offset:444 ; 4-byte Folded Reload
	v_add_f64 v[2:3], v[2:3], -v[12:13]
	v_mul_f64 v[12:13], v[4:5], v[4:5]
	v_ldexp_f64 v[2:3], v[2:3], 1
	s_mov_b32 s5, 0x3c7abc9e
	v_cmp_class_f64_e64 vcc, v[8:9], s16
	s_waitcnt vmcnt(2)
	v_fmac_f64_e32 v[32:33], s[0:1], v[12:13]
	s_mov_b32 s0, 0x998fffa0
	s_waitcnt vmcnt(0)
	v_fmac_f64_e32 v[36:37], v[12:13], v[32:33]
	buffer_load_dword v32, off, s[96:99], 0 offset:448 ; 4-byte Folded Reload
	buffer_load_dword v33, off, s[96:99], 0 offset:452 ; 4-byte Folded Reload
	s_mov_b32 s1, 0x401ba18a
	s_waitcnt vmcnt(0)
	v_fmac_f64_e32 v[32:33], v[12:13], v[36:37]
	buffer_load_dword v36, off, s[96:99], 0 offset:232 ; 4-byte Folded Reload
	buffer_load_dword v37, off, s[96:99], 0 offset:236 ; 4-byte Folded Reload
	;; [unrolled: 1-line block ×4, first 2 shown]
	s_waitcnt vmcnt(1)
	v_mov_b32_e32 v36, v38
	s_waitcnt vmcnt(0)
	buffer_store_dword v38, off, s[96:99], 0 offset:416 ; 4-byte Folded Spill
	s_nop 0
	buffer_store_dword v39, off, s[96:99], 0 offset:420 ; 4-byte Folded Spill
	v_fmac_f64_e32 v[36:37], v[12:13], v[32:33]
	buffer_load_dword v32, off, s[96:99], 0 offset:240 ; 4-byte Folded Reload
	buffer_load_dword v33, off, s[96:99], 0 offset:244 ; 4-byte Folded Reload
	;; [unrolled: 1-line block ×4, first 2 shown]
	s_waitcnt vmcnt(1)
	v_mov_b32_e32 v32, v38
	s_waitcnt vmcnt(0)
	buffer_store_dword v38, off, s[96:99], 0 offset:424 ; 4-byte Folded Spill
	s_nop 0
	buffer_store_dword v39, off, s[96:99], 0 offset:428 ; 4-byte Folded Spill
	v_fmac_f64_e32 v[32:33], v[12:13], v[36:37]
	buffer_load_dword v36, off, s[96:99], 0 offset:456 ; 4-byte Folded Reload
	buffer_load_dword v37, off, s[96:99], 0 offset:460 ; 4-byte Folded Reload
	s_waitcnt vmcnt(0)
	v_fmac_f64_e32 v[36:37], v[12:13], v[32:33]
	v_ldexp_f64 v[32:33], v[4:5], 1
	v_mul_f64 v[4:5], v[4:5], v[12:13]
	v_mul_f64 v[4:5], v[4:5], v[36:37]
	v_add_f64 v[12:13], v[32:33], v[4:5]
	v_add_f64 v[32:33], v[12:13], -v[32:33]
	v_add_f64 v[4:5], v[4:5], -v[32:33]
	v_add_f64 v[2:3], v[2:3], v[4:5]
	v_add_f64 v[4:5], v[12:13], v[2:3]
	v_add_f64 v[12:13], v[4:5], -v[12:13]
	v_add_f64 v[2:3], v[2:3], -v[12:13]
	v_cvt_f64_i32_e32 v[12:13], v21
	v_mul_f64 v[32:33], v[12:13], s[6:7]
	v_fma_f64 v[36:37], v[12:13], s[6:7], -v[32:33]
	v_fmac_f64_e32 v[36:37], s[4:5], v[12:13]
	v_add_f64 v[12:13], v[32:33], v[36:37]
	v_add_f64 v[32:33], v[12:13], -v[32:33]
	v_add_f64 v[32:33], v[36:37], -v[32:33]
	v_add_f64 v[36:37], v[12:13], v[4:5]
	v_add_f64 v[38:39], v[36:37], -v[12:13]
	v_add_f64 v[40:41], v[36:37], -v[38:39]
	;; [unrolled: 1-line block ×4, first 2 shown]
	v_add_f64 v[4:5], v[4:5], v[12:13]
	v_add_f64 v[12:13], v[32:33], v[2:3]
	v_add_f64 v[38:39], v[12:13], -v[32:33]
	v_add_f64 v[40:41], v[12:13], -v[38:39]
	v_add_f64 v[4:5], v[12:13], v[4:5]
	v_add_f64 v[32:33], v[32:33], -v[40:41]
	v_add_f64 v[2:3], v[2:3], -v[38:39]
	v_add_f64 v[12:13], v[36:37], v[4:5]
	v_add_f64 v[2:3], v[2:3], v[32:33]
	v_add_f64 v[32:33], v[12:13], -v[36:37]
	v_add_f64 v[4:5], v[4:5], -v[32:33]
	v_add_f64 v[2:3], v[2:3], v[4:5]
	v_add_f64 v[2:3], v[12:13], v[2:3]
	v_cndmask_b32_e32 v3, v3, v9, vcc
	v_cndmask_b32_e32 v2, v2, v8, vcc
	v_div_scale_f64 v[4:5], s[8:9], s[0:1], s[0:1], v[2:3]
	v_rcp_f64_e32 v[12:13], v[4:5]
	s_getpc_b64 s[8:9]
	s_add_u32 s8, s8, _ZL6K2_tab@rel32@lo+4
	s_addc_u32 s9, s9, _ZL6K2_tab@rel32@hi+12
	v_fma_f64 v[32:33], -v[4:5], v[12:13], 1.0
	v_fmac_f64_e32 v[12:13], v[12:13], v[32:33]
	v_fma_f64 v[32:33], -v[4:5], v[12:13], 1.0
	v_fmac_f64_e32 v[12:13], v[12:13], v[32:33]
	v_div_scale_f64 v[32:33], vcc, v[2:3], s[0:1], v[2:3]
	v_mul_f64 v[36:37], v[32:33], v[12:13]
	v_fma_f64 v[4:5], -v[4:5], v[36:37], v[32:33]
	s_nop 1
	v_div_fmas_f64 v[4:5], v[4:5], v[12:13], v[36:37]
	v_div_fixup_f64 v[2:3], v[4:5], s[0:1], v[2:3]
	s_mov_b32 s0, 0
	s_mov_b32 s1, 0x40490000
	v_mul_f64 v[2:3], v[2:3], s[0:1]
	v_cmp_neq_f64_e32 vcc, 0, v[8:9]
	v_mov_b32_e32 v4, 0xfff00000
	v_cndmask_b32_e32 v3, v4, v3, vcc
	v_cndmask_b32_e32 v2, 0, v2, vcc
	v_floor_f64_e32 v[4:5], v[2:3]
	v_cvt_i32_f64_e32 v4, v[4:5]
	v_ashrrev_i32_e32 v5, 31, v4
	v_cvt_f64_i32_e32 v[8:9], v4
	v_lshlrev_b64 v[4:5], 3, v[4:5]
	v_add_f64 v[2:3], v[2:3], -v[8:9]
	v_add_co_u32_e32 v4, vcc, s8, v4
	v_mov_b32_e32 v8, s9
	v_addc_co_u32_e32 v5, vcc, v5, v8, vcc
	global_load_dwordx4 v[38:41], v[4:5], off
	v_add_f64 v[12:13], -v[2:3], 1.0
	v_readlane_b32 s8, v127, 6
	s_mov_b32 vcc_lo, 0x652b82fe
	v_readlane_b32 s9, v127, 7
	s_mov_b32 vcc_hi, 0xbff71547
	s_mov_b32 s8, vcc_lo
	s_mov_b32 s1, s9
	v_writelane_b32 v127, s0, 6
	v_writelane_b32 v127, s1, 7
	s_mov_b32 s1, s37
	s_mov_b32 s0, s6
	s_waitcnt vmcnt(0)
	v_mul_f64 v[8:9], v[2:3], v[40:41]
	v_fmac_f64_e32 v[8:9], v[12:13], v[38:39]
	buffer_load_dword v12, off, s[96:99], 0 offset:304 ; 4-byte Folded Reload
	buffer_load_dword v13, off, s[96:99], 0 offset:308 ; 4-byte Folded Reload
	;; [unrolled: 1-line block ×4, first 2 shown]
	v_mul_f64 v[2:3], v[8:9], s[8:9]
	v_rndne_f64_e32 v[2:3], v[2:3]
	v_fma_f64 v[4:5], s[0:1], v[2:3], v[8:9]
	v_readlane_b32 s0, v127, 16
	v_readlane_b32 s1, v127, 17
	s_mov_b32 s9, s1
	v_writelane_b32 v127, s0, 16
	s_mov_b32 s8, s4
	v_writelane_b32 v127, s1, 17
	s_mov_b32 s0, 0x6a5dcb37
	v_fmac_f64_e32 v[4:5], s[8:9], v[2:3]
	s_mov_b32 s1, 0x3e5ade15
	v_cvt_i32_f64_e32 v2, v[2:3]
	s_waitcnt vmcnt(2)
	v_fmac_f64_e32 v[12:13], s[0:1], v[4:5]
	s_waitcnt vmcnt(0)
	v_fmac_f64_e32 v[32:33], v[4:5], v[12:13]
	buffer_load_dword v12, off, s[96:99], 0 offset:320 ; 4-byte Folded Reload
	buffer_load_dword v13, off, s[96:99], 0 offset:324 ; 4-byte Folded Reload
	s_mov_b32 s0, 0
	s_mov_b32 s1, 0x40900000
	v_cmp_nlt_f64_e32 vcc, s[0:1], v[8:9]
	s_mov_b32 s0, 0
	s_mov_b32 s1, 0xc090cc00
	v_cmp_ngt_f64_e64 s[8:9], s[0:1], v[8:9]
	s_waitcnt vmcnt(0)
	v_fmac_f64_e32 v[12:13], v[4:5], v[32:33]
	buffer_load_dword v32, off, s[96:99], 0 offset:328 ; 4-byte Folded Reload
	buffer_load_dword v33, off, s[96:99], 0 offset:332 ; 4-byte Folded Reload
	s_waitcnt vmcnt(0)
	v_fmac_f64_e32 v[32:33], v[4:5], v[12:13]
	buffer_load_dword v12, off, s[96:99], 0 offset:336 ; 4-byte Folded Reload
	buffer_load_dword v13, off, s[96:99], 0 offset:340 ; 4-byte Folded Reload
	;; [unrolled: 4-line block ×3, first 2 shown]
	buffer_load_dword v36, off, s[96:99], 0 offset:208 ; 4-byte Folded Reload
	buffer_load_dword v37, off, s[96:99], 0 offset:212 ; 4-byte Folded Reload
	s_waitcnt vmcnt(1)
	v_mov_b32_e32 v32, v36
	s_waitcnt vmcnt(0)
	buffer_store_dword v36, off, s[96:99], 0 offset:208 ; 4-byte Folded Spill
	s_nop 0
	buffer_store_dword v37, off, s[96:99], 0 offset:212 ; 4-byte Folded Spill
	v_fmac_f64_e32 v[32:33], v[4:5], v[12:13]
	buffer_load_dword v12, off, s[96:99], 0 offset:112 ; 4-byte Folded Reload
	buffer_load_dword v13, off, s[96:99], 0 offset:116 ; 4-byte Folded Reload
	;; [unrolled: 1-line block ×4, first 2 shown]
	s_waitcnt vmcnt(1)
	v_mov_b32_e32 v12, v36
	s_waitcnt vmcnt(0)
	buffer_store_dword v36, off, s[96:99], 0 offset:216 ; 4-byte Folded Spill
	s_nop 0
	buffer_store_dword v37, off, s[96:99], 0 offset:220 ; 4-byte Folded Spill
	v_fmac_f64_e32 v[12:13], v[4:5], v[32:33]
	buffer_load_dword v32, off, s[96:99], 0 offset:248 ; 4-byte Folded Reload
	buffer_load_dword v33, off, s[96:99], 0 offset:252 ; 4-byte Folded Reload
	s_waitcnt vmcnt(0)
	v_fmac_f64_e32 v[32:33], v[4:5], v[12:13]
	buffer_load_dword v12, off, s[96:99], 0 offset:344 ; 4-byte Folded Reload
	buffer_load_dword v13, off, s[96:99], 0 offset:348 ; 4-byte Folded Reload
	s_waitcnt vmcnt(0)
	v_fmac_f64_e32 v[12:13], v[4:5], v[32:33]
	v_fma_f64 v[12:13], v[4:5], v[12:13], 1.0
	v_fma_f64 v[4:5], v[4:5], v[12:13], 1.0
	v_ldexp_f64 v[2:3], v[4:5], v2
	v_cndmask_b32_e32 v3, v31, v3, vcc
	s_and_b64 vcc, s[8:9], vcc
	v_cndmask_b32_e32 v58, 0, v2, vcc
	v_cndmask_b32_e64 v59, 0, v3, s[8:9]
.LBB1_171:                              ;   in Loop: Header=BB1_79 Depth=1
	s_or_b64 exec, exec, s[2:3]
.LBB1_172:                              ;   in Loop: Header=BB1_79 Depth=1
	s_andn2_saveexec_b64 s[0:1], s[10:11]
	s_cbranch_execz .LBB1_77
; %bb.173:                              ;   in Loop: Header=BB1_79 Depth=1
	v_add_f64 v[2:3], v[94:95], v[94:95]
	v_mul_f64 v[58:59], v[94:95], v[2:3]
	s_branch .LBB1_77
.LBB1_174:
	v_readlane_b32 s0, v127, 24
	v_readlane_b32 s1, v127, 25
	s_or_b64 exec, exec, s[0:1]
	buffer_load_dword v0, off, s[96:99], 0 offset:464 ; 4-byte Folded Reload
	buffer_load_dword v1, off, s[96:99], 0 offset:468 ; 4-byte Folded Reload
	v_readlane_b32 s0, v127, 0
	v_readlane_b32 s1, v127, 1
	v_mul_f64 v[2:3], s[0:1], 0.5
	s_mov_b32 s0, 0x7b2969f6
	s_mov_b32 s1, 0x3df0a49b
	v_div_scale_f64 v[4:5], s[2:3], v[2:3], v[2:3], s[0:1]
	v_rcp_f64_e32 v[6:7], v[4:5]
	s_waitcnt vmcnt(0)
	v_mov_b32_e32 v1, 0
	v_readlane_b32 s2, v127, 2
	v_readlane_b32 s3, v127, 3
	v_fma_f64 v[8:9], -v[4:5], v[6:7], 1.0
	v_fmac_f64_e32 v[6:7], v[6:7], v[8:9]
	v_fma_f64 v[8:9], -v[4:5], v[6:7], 1.0
	v_fmac_f64_e32 v[6:7], v[6:7], v[8:9]
	v_div_scale_f64 v[8:9], vcc, s[0:1], v[2:3], s[0:1]
	v_mul_f64 v[10:11], v[8:9], v[6:7]
	v_fma_f64 v[4:5], -v[4:5], v[10:11], v[8:9]
	v_mov_b32_e32 v12, s3
	s_nop 0
	v_div_fmas_f64 v[4:5], v[4:5], v[6:7], v[10:11]
	v_div_fixup_f64 v[4:5], v[4:5], v[2:3], s[0:1]
	v_mul_f64 v[4:5], v[4:5], s[0:1]
	v_div_scale_f64 v[6:7], s[0:1], v[2:3], v[2:3], v[4:5]
	v_rcp_f64_e32 v[8:9], v[6:7]
	s_mov_b32 s0, 0x208d29e
	s_mov_b32 s1, 0x449637f1
	v_fma_f64 v[10:11], -v[6:7], v[8:9], 1.0
	v_fmac_f64_e32 v[8:9], v[8:9], v[10:11]
	v_fma_f64 v[10:11], -v[6:7], v[8:9], 1.0
	v_fmac_f64_e32 v[8:9], v[8:9], v[10:11]
	v_add_u32_e32 v0, 2, v0
	v_lshlrev_b64 v[0:1], 3, v[0:1]
	v_add_co_u32_e32 v0, vcc, s2, v0
	v_addc_co_u32_e32 v1, vcc, v12, v1, vcc
	v_div_scale_f64 v[10:11], vcc, v[4:5], v[2:3], v[4:5]
	v_mul_f64 v[12:13], v[10:11], v[8:9]
	v_fma_f64 v[6:7], -v[6:7], v[12:13], v[10:11]
	s_nop 1
	v_div_fmas_f64 v[6:7], v[6:7], v[8:9], v[12:13]
	v_div_fixup_f64 v[2:3], v[6:7], v[2:3], v[4:5]
	buffer_load_dword v4, off, s[96:99], 0 offset:352 ; 4-byte Folded Reload
	buffer_load_dword v5, off, s[96:99], 0 offset:356 ; 4-byte Folded Reload
	v_mul_f64 v[2:3], v[2:3], s[0:1]
	v_mul_f64 v[2:3], v[2:3], s[0:1]
	s_mov_b32 s0, 0x53c8d4f1
	v_mul_f64 v[2:3], v[2:3], 4.0
	s_mov_b32 s1, 0x400921fb
	v_mul_f64 v[2:3], v[2:3], s[0:1]
	v_readlane_b32 s0, v127, 4
	v_readlane_b32 s1, v127, 5
	v_mul_f64 v[2:3], v[2:3], s[0:1]
	s_waitcnt vmcnt(0)
	v_mul_f64 v[4:5], s[0:1], v[4:5]
	v_mul_f64 v[4:5], s[0:1], v[4:5]
	;; [unrolled: 1-line block ×4, first 2 shown]
	global_store_dwordx2 v[0:1], v[2:3], off
.LBB1_175:
	s_endpgm
	.section	.rodata,"a",@progbits
	.p2align	6, 0x0
	.amdhsa_kernel _Z5task2PdS_ii
		.amdhsa_group_segment_fixed_size 0
		.amdhsa_private_segment_fixed_size 476
		.amdhsa_kernarg_size 280
		.amdhsa_user_sgpr_count 6
		.amdhsa_user_sgpr_private_segment_buffer 1
		.amdhsa_user_sgpr_dispatch_ptr 0
		.amdhsa_user_sgpr_queue_ptr 0
		.amdhsa_user_sgpr_kernarg_segment_ptr 1
		.amdhsa_user_sgpr_dispatch_id 0
		.amdhsa_user_sgpr_flat_scratch_init 0
		.amdhsa_user_sgpr_kernarg_preload_length 0
		.amdhsa_user_sgpr_kernarg_preload_offset 0
		.amdhsa_user_sgpr_private_segment_size 0
		.amdhsa_uses_dynamic_stack 0
		.amdhsa_system_sgpr_private_segment_wavefront_offset 1
		.amdhsa_system_sgpr_workgroup_id_x 1
		.amdhsa_system_sgpr_workgroup_id_y 1
		.amdhsa_system_sgpr_workgroup_id_z 0
		.amdhsa_system_sgpr_workgroup_info 0
		.amdhsa_system_vgpr_workitem_id 1
		.amdhsa_next_free_vgpr 128
		.amdhsa_next_free_sgpr 100
		.amdhsa_accum_offset 128
		.amdhsa_reserve_vcc 1
		.amdhsa_reserve_flat_scratch 0
		.amdhsa_float_round_mode_32 0
		.amdhsa_float_round_mode_16_64 0
		.amdhsa_float_denorm_mode_32 3
		.amdhsa_float_denorm_mode_16_64 3
		.amdhsa_dx10_clamp 1
		.amdhsa_ieee_mode 1
		.amdhsa_fp16_overflow 0
		.amdhsa_tg_split 0
		.amdhsa_exception_fp_ieee_invalid_op 0
		.amdhsa_exception_fp_denorm_src 0
		.amdhsa_exception_fp_ieee_div_zero 0
		.amdhsa_exception_fp_ieee_overflow 0
		.amdhsa_exception_fp_ieee_underflow 0
		.amdhsa_exception_fp_ieee_inexact 0
		.amdhsa_exception_int_div_zero 0
	.end_amdhsa_kernel
	.text
.Lfunc_end1:
	.size	_Z5task2PdS_ii, .Lfunc_end1-_Z5task2PdS_ii
                                        ; -- End function
	.section	.AMDGPU.csdata,"",@progbits
; Kernel info:
; codeLenInByte = 72632
; NumSgprs: 104
; NumVgprs: 128
; NumAgprs: 0
; TotalNumVgprs: 128
; ScratchSize: 476
; MemoryBound: 0
; FloatMode: 240
; IeeeMode: 1
; LDSByteSize: 0 bytes/workgroup (compile time only)
; SGPRBlocks: 12
; VGPRBlocks: 15
; NumSGPRsForWavesPerEU: 104
; NumVGPRsForWavesPerEU: 128
; AccumOffset: 128
; Occupancy: 4
; WaveLimiterHint : 0
; COMPUTE_PGM_RSRC2:SCRATCH_EN: 1
; COMPUTE_PGM_RSRC2:USER_SGPR: 6
; COMPUTE_PGM_RSRC2:TRAP_HANDLER: 0
; COMPUTE_PGM_RSRC2:TGID_X_EN: 1
; COMPUTE_PGM_RSRC2:TGID_Y_EN: 1
; COMPUTE_PGM_RSRC2:TGID_Z_EN: 0
; COMPUTE_PGM_RSRC2:TIDIG_COMP_CNT: 1
; COMPUTE_PGM_RSRC3_GFX90A:ACCUM_OFFSET: 31
; COMPUTE_PGM_RSRC3_GFX90A:TG_SPLIT: 0
	.text
	.p2alignl 6, 3212836864
	.fill 256, 4, 3212836864
	.type	_ZL6K2_tab,@object              ; @_ZL6K2_tab
	.section	.rodata,"a",@progbits
	.p2align	4, 0x0
_ZL6K2_tab:
	.quad	0xc0257e76ea422899              ; double -10.747000999999999
	.quad	0xc022b9a2a4db163c              ; double -9.3625690000000005
	;; [unrolled: 1-line block ×16, first 2 shown]
	.quad	0x3fd0ead0c3d25248              ; double 0.26433200000000001
	.quad	0x3fe301797cc39ffd              ; double 0.59392999999999996
	;; [unrolled: 1-line block ×34, first 2 shown]
	.size	_ZL6K2_tab, 400

	.type	__hip_cuid_d4b5289ec37f90eb,@object ; @__hip_cuid_d4b5289ec37f90eb
	.section	.bss,"aw",@nobits
	.globl	__hip_cuid_d4b5289ec37f90eb
__hip_cuid_d4b5289ec37f90eb:
	.byte	0                               ; 0x0
	.size	__hip_cuid_d4b5289ec37f90eb, 1

	.ident	"AMD clang version 19.0.0git (https://github.com/RadeonOpenCompute/llvm-project roc-6.4.0 25133 c7fe45cf4b819c5991fe208aaa96edf142730f1d)"
	.section	".note.GNU-stack","",@progbits
	.addrsig
	.addrsig_sym __hip_cuid_d4b5289ec37f90eb
	.amdgpu_metadata
---
amdhsa.kernels:
  - .agpr_count:     0
    .args:
      - .actual_access:  write_only
        .address_space:  global
        .offset:         0
        .size:           8
        .value_kind:     global_buffer
      - .actual_access:  read_only
        .address_space:  global
        .offset:         8
        .size:           8
        .value_kind:     global_buffer
      - .offset:         16
        .size:           4
        .value_kind:     by_value
      - .offset:         20
        .size:           4
        .value_kind:     by_value
      - .offset:         24
        .size:           4
        .value_kind:     hidden_block_count_x
      - .offset:         28
        .size:           4
        .value_kind:     hidden_block_count_y
      - .offset:         32
        .size:           4
        .value_kind:     hidden_block_count_z
      - .offset:         36
        .size:           2
        .value_kind:     hidden_group_size_x
      - .offset:         38
        .size:           2
        .value_kind:     hidden_group_size_y
      - .offset:         40
        .size:           2
        .value_kind:     hidden_group_size_z
      - .offset:         42
        .size:           2
        .value_kind:     hidden_remainder_x
      - .offset:         44
        .size:           2
        .value_kind:     hidden_remainder_y
      - .offset:         46
        .size:           2
        .value_kind:     hidden_remainder_z
      - .offset:         64
        .size:           8
        .value_kind:     hidden_global_offset_x
      - .offset:         72
        .size:           8
        .value_kind:     hidden_global_offset_y
      - .offset:         80
        .size:           8
        .value_kind:     hidden_global_offset_z
      - .offset:         88
        .size:           2
        .value_kind:     hidden_grid_dims
    .group_segment_fixed_size: 0
    .kernarg_segment_align: 8
    .kernarg_segment_size: 280
    .language:       OpenCL C
    .language_version:
      - 2
      - 0
    .max_flat_workgroup_size: 1024
    .name:           _Z5task1PdS_ii
    .private_segment_fixed_size: 372
    .sgpr_count:     104
    .sgpr_spill_count: 40
    .symbol:         _Z5task1PdS_ii.kd
    .uniform_work_group_size: 1
    .uses_dynamic_stack: false
    .vgpr_count:     128
    .vgpr_spill_count: 100
    .wavefront_size: 64
  - .agpr_count:     0
    .args:
      - .actual_access:  write_only
        .address_space:  global
        .offset:         0
        .size:           8
        .value_kind:     global_buffer
      - .actual_access:  read_only
        .address_space:  global
        .offset:         8
        .size:           8
        .value_kind:     global_buffer
      - .offset:         16
        .size:           4
        .value_kind:     by_value
      - .offset:         20
        .size:           4
        .value_kind:     by_value
      - .offset:         24
        .size:           4
        .value_kind:     hidden_block_count_x
      - .offset:         28
        .size:           4
        .value_kind:     hidden_block_count_y
      - .offset:         32
        .size:           4
        .value_kind:     hidden_block_count_z
      - .offset:         36
        .size:           2
        .value_kind:     hidden_group_size_x
      - .offset:         38
        .size:           2
        .value_kind:     hidden_group_size_y
      - .offset:         40
        .size:           2
        .value_kind:     hidden_group_size_z
      - .offset:         42
        .size:           2
        .value_kind:     hidden_remainder_x
      - .offset:         44
        .size:           2
        .value_kind:     hidden_remainder_y
      - .offset:         46
        .size:           2
        .value_kind:     hidden_remainder_z
      - .offset:         64
        .size:           8
        .value_kind:     hidden_global_offset_x
      - .offset:         72
        .size:           8
        .value_kind:     hidden_global_offset_y
      - .offset:         80
        .size:           8
        .value_kind:     hidden_global_offset_z
      - .offset:         88
        .size:           2
        .value_kind:     hidden_grid_dims
    .group_segment_fixed_size: 0
    .kernarg_segment_align: 8
    .kernarg_segment_size: 280
    .language:       OpenCL C
    .language_version:
      - 2
      - 0
    .max_flat_workgroup_size: 1024
    .name:           _Z5task2PdS_ii
    .private_segment_fixed_size: 476
    .sgpr_count:     104
    .sgpr_spill_count: 102
    .symbol:         _Z5task2PdS_ii.kd
    .uniform_work_group_size: 1
    .uses_dynamic_stack: false
    .vgpr_count:     128
    .vgpr_spill_count: 144
    .wavefront_size: 64
amdhsa.target:   amdgcn-amd-amdhsa--gfx90a
amdhsa.version:
  - 1
  - 2
...

	.end_amdgpu_metadata
